;; amdgpu-corpus repo=ROCm/Tensile kind=harvested arch=n/a opt=n/a

/******************************************/
/* Function Prefix                        */
/******************************************/



/******************************************/
/* Begin Kernel                           */
/******************************************/

// Component.Signature.SignatureDefault
.amdgcn_target "amdgcn-amd-amdhsa--gfx942"
.text
.protected Cijk_Alik_Bljk_B8B8S_BH_MT256x224x128_MI16x16x32x1_SN_1LDSB1_APM1_AF0EM16_AF1EM16_AMAS3_ASE_ASGT3512_ASLT_ASM_ASAE01_ASCE01_ASEM128_BL1_BS1_CLR0_DTVA0_DTVB0_ETSP_EPS1_ELFLR4_EMLL0_FSSC10_FL1_GLVWA4_GLVWB4_GRCGA1_GRPM1_GRVW4_GSU1_GSUASB_GLS0_IU1_K1_LBSPPA1024_LBSPPB128_LPA8_LPB8_LRVW8_LWPMn1_MIAV0_MKFGSU256_NTA0_NTB0_NTC3_NTD3_NEPBS0_NLCA1_NLCB1_ONLL1_PGR2_PLR5_PKA0_SIA3_SLW1_SS1_SU4_SUM0_SUS128_SPO1_SRVW0_SSO0_SVW8_TSGRA0_TSGRB0_TT8_112_TLDS1_UMLDSA1_UMLDSB1_USFGROn1_VAW1_VSn1_VW8_VWB1_VFLRP0_WSGRA0_WSGRB0_WG32_8_1_WGM16
.globl Cijk_Alik_Bljk_B8B8S_BH_MT256x224x128_MI16x16x32x1_SN_1LDSB1_APM1_AF0EM16_AF1EM16_AMAS3_ASE_ASGT3512_ASLT_ASM_ASAE01_ASCE01_ASEM128_BL1_BS1_CLR0_DTVA0_DTVB0_ETSP_EPS1_ELFLR4_EMLL0_FSSC10_FL1_GLVWA4_GLVWB4_GRCGA1_GRPM1_GRVW4_GSU1_GSUASB_GLS0_IU1_K1_LBSPPA1024_LBSPPB128_LPA8_LPB8_LRVW8_LWPMn1_MIAV0_MKFGSU256_NTA0_NTB0_NTC3_NTD3_NEPBS0_NLCA1_NLCB1_ONLL1_PGR2_PLR5_PKA0_SIA3_SLW1_SS1_SU4_SUM0_SUS128_SPO1_SRVW0_SSO0_SVW8_TSGRA0_TSGRB0_TT8_112_TLDS1_UMLDSA1_UMLDSB1_USFGROn1_VAW1_VSn1_VW8_VWB1_VFLRP0_WSGRA0_WSGRB0_WG32_8_1_WGM16
.p2align 8
.type Cijk_Alik_Bljk_B8B8S_BH_MT256x224x128_MI16x16x32x1_SN_1LDSB1_APM1_AF0EM16_AF1EM16_AMAS3_ASE_ASGT3512_ASLT_ASM_ASAE01_ASCE01_ASEM128_BL1_BS1_CLR0_DTVA0_DTVB0_ETSP_EPS1_ELFLR4_EMLL0_FSSC10_FL1_GLVWA4_GLVWB4_GRCGA1_GRPM1_GRVW4_GSU1_GSUASB_GLS0_IU1_K1_LBSPPA1024_LBSPPB128_LPA8_LPB8_LRVW8_LWPMn1_MIAV0_MKFGSU256_NTA0_NTB0_NTC3_NTD3_NEPBS0_NLCA1_NLCB1_ONLL1_PGR2_PLR5_PKA0_SIA3_SLW1_SS1_SU4_SUM0_SUS128_SPO1_SRVW0_SSO0_SVW8_TSGRA0_TSGRB0_TT8_112_TLDS1_UMLDSA1_UMLDSB1_USFGROn1_VAW1_VSn1_VW8_VWB1_VFLRP0_WSGRA0_WSGRB0_WG32_8_1_WGM16,@function
.section .rodata,#alloc
.p2align 6
.amdhsa_kernel Cijk_Alik_Bljk_B8B8S_BH_MT256x224x128_MI16x16x32x1_SN_1LDSB1_APM1_AF0EM16_AF1EM16_AMAS3_ASE_ASGT3512_ASLT_ASM_ASAE01_ASCE01_ASEM128_BL1_BS1_CLR0_DTVA0_DTVB0_ETSP_EPS1_ELFLR4_EMLL0_FSSC10_FL1_GLVWA4_GLVWB4_GRCGA1_GRPM1_GRVW4_GSU1_GSUASB_GLS0_IU1_K1_LBSPPA1024_LBSPPB128_LPA8_LPB8_LRVW8_LWPMn1_MIAV0_MKFGSU256_NTA0_NTB0_NTC3_NTD3_NEPBS0_NLCA1_NLCB1_ONLL1_PGR2_PLR5_PKA0_SIA3_SLW1_SS1_SU4_SUM0_SUS128_SPO1_SRVW0_SSO0_SVW8_TSGRA0_TSGRB0_TT8_112_TLDS1_UMLDSA1_UMLDSB1_USFGROn1_VAW1_VSn1_VW8_VWB1_VFLRP0_WSGRA0_WSGRB0_WG32_8_1_WGM16
  .amdhsa_user_sgpr_kernarg_segment_ptr 1
  .amdhsa_user_sgpr_kernarg_preload_offset 0
  .amdhsa_user_sgpr_kernarg_preload_length 0
  .amdhsa_user_sgpr_count 2
  .amdhsa_accum_offset 256 // accvgpr offset
  .amdhsa_next_free_vgpr 480 // vgprs
  .amdhsa_next_free_sgpr 63 // sgprs
  .amdhsa_group_segment_fixed_size 63488 // lds bytes
  .amdhsa_private_segment_fixed_size 0
  .amdhsa_system_sgpr_workgroup_id_x 1
  .amdhsa_system_sgpr_workgroup_id_y 1
  .amdhsa_system_sgpr_workgroup_id_z 1
  .amdhsa_system_vgpr_workitem_id 0
  .amdhsa_float_denorm_mode_32 3
  .amdhsa_float_denorm_mode_16_64 3
.end_amdhsa_kernel
.text

/******************************************/
/* Optimizations and Config:              */
/******************************************/
/* ThreadTile= 32 x 7 */
/* SubGroup= 8 x 32 */
/* VectorWidthA=8 */
/* VectorWidthB=1 */
/* GlobalLoadVectorWidthA=4, GlobalLoadVectorWidthB=4 */
/* DirectToLdsA=False */
/* DirectToLdsB=False */
/* UseSgprForGRO=0 */
.amdgpu_metadata
---
amdhsa.version:
  - 1
  - 1
amdhsa.target: amdgcn-amd-amdhsa--gfx942
amdhsa.kernels:
  - .name: Cijk_Alik_Bljk_B8B8S_BH_MT256x224x128_MI16x16x32x1_SN_1LDSB1_APM1_AF0EM16_AF1EM16_AMAS3_ASE_ASGT3512_ASLT_ASM_ASAE01_ASCE01_ASEM128_BL1_BS1_CLR0_DTVA0_DTVB0_ETSP_EPS1_ELFLR4_EMLL0_FSSC10_FL1_GLVWA4_GLVWB4_GRCGA1_GRPM1_GRVW4_GSU1_GSUASB_GLS0_IU1_K1_LBSPPA1024_LBSPPB128_LPA8_LPB8_LRVW8_LWPMn1_MIAV0_MKFGSU256_NTA0_NTB0_NTC3_NTD3_NEPBS0_NLCA1_NLCB1_ONLL1_PGR2_PLR5_PKA0_SIA3_SLW1_SS1_SU4_SUM0_SUS128_SPO1_SRVW0_SSO0_SVW8_TSGRA0_TSGRB0_TT8_112_TLDS1_UMLDSA1_UMLDSB1_USFGROn1_VAW1_VSn1_VW8_VWB1_VFLRP0_WSGRA0_WSGRB0_WG32_8_1_WGM16
    .symbol: 'Cijk_Alik_Bljk_B8B8S_BH_MT256x224x128_MI16x16x32x1_SN_1LDSB1_APM1_AF0EM16_AF1EM16_AMAS3_ASE_ASGT3512_ASLT_ASM_ASAE01_ASCE01_ASEM128_BL1_BS1_CLR0_DTVA0_DTVB0_ETSP_EPS1_ELFLR4_EMLL0_FSSC10_FL1_GLVWA4_GLVWB4_GRCGA1_GRPM1_GRVW4_GSU1_GSUASB_GLS0_IU1_K1_LBSPPA1024_LBSPPB128_LPA8_LPB8_LRVW8_LWPMn1_MIAV0_MKFGSU256_NTA0_NTB0_NTC3_NTD3_NEPBS0_NLCA1_NLCB1_ONLL1_PGR2_PLR5_PKA0_SIA3_SLW1_SS1_SU4_SUM0_SUS128_SPO1_SRVW0_SSO0_SVW8_TSGRA0_TSGRB0_TT8_112_TLDS1_UMLDSA1_UMLDSB1_USFGROn1_VAW1_VSn1_VW8_VWB1_VFLRP0_WSGRA0_WSGRB0_WG32_8_1_WGM16.kd'
    .language:                   OpenCL C
    .language_version:
      - 2
      - 0
    .args:
      - .name:            Tensor2dSizeA
        .size:            8
        .offset:          0
        .value_kind:      by_value
        .value_type:      u64
      - .name:            Tensor2dSizeB
        .size:            8
        .offset:          8
        .value_kind:      by_value
        .value_type:      u64
      - .name:            AddressD
        .size:            8
        .offset:          16
        .value_kind:      by_value
        .value_type:      u64
      - .name:            AddressC
        .size:            8
        .offset:          24
        .value_kind:      by_value
        .value_type:      u64
      - .name:            AddressA
        .size:            8
        .offset:          32
        .value_kind:      by_value
        .value_type:      u64
      - .name:            AddressB
        .size:            8
        .offset:          40
        .value_kind:      by_value
        .value_type:      u64
      - .name:            Alpha
        .size:            4
        .offset:          48
        .value_kind:      by_value
        .value_type:      u32
      - .name:            Beta
        .size:            4
        .offset:          52
        .value_kind:      by_value
        .value_type:      u32
      - .name:            StridesD
        .size:            8
        .offset:          56
        .value_kind:      by_value
        .value_type:      u64
      - .name:            StridesC
        .size:            8
        .offset:          64
        .value_kind:      by_value
        .value_type:      u64
      - .name:            StridesA
        .size:            8
        .offset:          72
        .value_kind:      by_value
        .value_type:      u64
      - .name:            StridesB
        .size:            8
        .offset:          80
        .value_kind:      by_value
        .value_type:      u64
      - .name:            SizesFree
        .size:            12
        .offset:          88
        .value_kind:      by_value
        .value_type:      u96
      - .name:            SizesSum
        .size:            4
        .offset:          100
        .value_kind:      by_value
        .value_type:      u32
      - .name:            OrigStaggerUIter
        .size:            4
        .offset:          104
        .value_kind:      by_value
        .value_type:      u32
      - .name:            NumWorkGroups0
        .size:            4
        .offset:          108
        .value_kind:      by_value
        .value_type:      u32
      - .name:            NumWorkGroups1
        .size:            4
        .offset:          112
        .value_kind:      by_value
        .value_type:      u32
      - .name:            NumFullBlocks
        .size:            4
        .offset:          116
        .value_kind:      by_value
        .value_type:      u32
      - .name:            WgmRemainder1
        .size:            4
        .offset:          120
        .value_kind:      by_value
        .value_type:      u32
      - .name:            MagicNumberWgmRemainder1
        .size:            4
        .offset:          124
        .value_kind:      by_value
        .value_type:      u32
    .group_segment_fixed_size:   63488
    .kernarg_segment_align:      8
    .kernarg_segment_size:       128
    .max_flat_workgroup_size:    256
    .private_segment_fixed_size: 0
    .sgpr_count:                 63
    .sgpr_spill_count:           0
    .vgpr_count:                 256
    .vgpr_spill_count:           0
    .wavefront_size:             64
...
.end_amdgpu_metadata
Cijk_Alik_Bljk_B8B8S_BH_MT256x224x128_MI16x16x32x1_SN_1LDSB1_APM1_AF0EM16_AF1EM16_AMAS3_ASE_ASGT3512_ASLT_ASM_ASAE01_ASCE01_ASEM128_BL1_BS1_CLR0_DTVA0_DTVB0_ETSP_EPS1_ELFLR4_EMLL0_FSSC10_FL1_GLVWA4_GLVWB4_GRCGA1_GRPM1_GRVW4_GSU1_GSUASB_GLS0_IU1_K1_LBSPPA1024_LBSPPB128_LPA8_LPB8_LRVW8_LWPMn1_MIAV0_MKFGSU256_NTA0_NTB0_NTC3_NTD3_NEPBS0_NLCA1_NLCB1_ONLL1_PGR2_PLR5_PKA0_SIA3_SLW1_SS1_SU4_SUM0_SUS128_SPO1_SRVW0_SSO0_SVW8_TSGRA0_TSGRB0_TT8_112_TLDS1_UMLDSA1_UMLDSB1_USFGROn1_VAW1_VSn1_VW8_VWB1_VFLRP0_WSGRA0_WSGRB0_WG32_8_1_WGM16:

/******************************************/
/* Asm syntax workarounds                 */
/******************************************/
.macro _v_add_co_u32 dst:req, cc:req, src0:req, src1:req, dpp=
   v_add_co_u32 \dst, \cc, \src0, \src1 \dpp
.endm

.macro _v_add_u32 dst:req, src0:req, src1:req, dpp=
   v_add_u32 \dst, \src0, \src1 \dpp
.endm

.macro _v_add_i32 dst:req, src0:req, src1:req, dpp=
   v_add_i32 \dst, \src0, \src1 \dpp
.endm

.macro _v_addc_co_u32 dst:req, ccOut:req, src0:req, ccIn:req, src1:req, dpp=
   v_addc_co_u32 \dst, \ccOut, \src0, \ccIn, \src1 \dpp
.endm

.macro _v_sub_co_u32 dst:req, cc:req, src0:req, src1:req, dpp=
   v_sub_co_u32 \dst, \cc, \src0, \src1 \dpp
.endm

.macro _v_sub_u32 dst:req, src0:req, src1:req, dpp=
   v_sub_u32 \dst, \src0, \src1 \dpp
.endm

.macro _v_sub_i32 dst:req, src0:req, src1:req, dpp=
   v_sub_i32 \dst, \src0, \src1 \dpp
.endm

.macro _v_add_lshl_u32 dst:req, src0:req, src1:req, shiftCnt:req
    v_add_lshl_u32 \dst, \src0, \src1, \shiftCnt
.endm

.macro _v_lshl_add_u32 dst:req, src0:req, src1:req, shiftCnt:req
    v_lshl_add_u32 \dst, \src0, \src1, \shiftCnt
.endm

.macro _v_lshl_or_b32 dst:req, src0:req, shiftCnt:req, src1:req
    v_lshl_or_b32 \dst, \src0, \shiftCnt, \src1
.endm

.macro _v_dot2acc_f32_f16 dst, src0, src1
v_dot2c_f32_f16 \dst, \src0, \src1
.endm

.macro _v_cmpx_lt_i16 dst, src0, src1=
   v_cmpx_lt_i16 \dst, \src0, \src1 
.endm

.macro _v_cmpx_lt_i32 dst, src0, src1=
   v_cmpx_lt_i32 \dst, \src0, \src1 
.endm

.macro _v_cmpx_lt_i64 dst, src0, src1=
   v_cmpx_lt_i64 \dst, \src0, \src1 
.endm

.macro _v_cmpx_lt_u16 dst, src0, src1=
   v_cmpx_lt_u16 \dst, \src0, \src1 
.endm

.macro _v_cmpx_lt_u32 dst, src0, src1=
   v_cmpx_lt_u32 \dst, \src0, \src1 
.endm

.macro _v_cmpx_lt_u64 dst, src0, src1=
   v_cmpx_lt_u64 \dst, \src0, \src1 
.endm

.macro _v_cmpx_eq_i16 dst, src0, src1=
   v_cmpx_eq_i16 \dst, \src0, \src1 
.endm

.macro _v_cmpx_eq_i32 dst, src0, src1=
   v_cmpx_eq_i32 \dst, \src0, \src1 
.endm

.macro _v_cmpx_eq_i64 dst, src0, src1=
   v_cmpx_eq_i64 \dst, \src0, \src1 
.endm

.macro _v_cmpx_eq_u16 dst, src0, src1=
   v_cmpx_eq_u16 \dst, \src0, \src1 
.endm

.macro _v_cmpx_eq_u32 dst, src0, src1=
   v_cmpx_eq_u32 \dst, \src0, \src1 
.endm

.macro _v_cmpx_eq_u64 dst, src0, src1=
   v_cmpx_eq_u64 \dst, \src0, \src1 
.endm

.macro _v_cmpx_le_i16 dst, src0, src1=
   v_cmpx_le_i16 \dst, \src0, \src1 
.endm

.macro _v_cmpx_le_i32 dst, src0, src1=
   v_cmpx_le_i32 \dst, \src0, \src1 
.endm

.macro _v_cmpx_le_i64 dst, src0, src1=
   v_cmpx_le_i64 \dst, \src0, \src1 
.endm

.macro _v_cmpx_le_u16 dst, src0, src1=
   v_cmpx_le_u16 \dst, \src0, \src1 
.endm

.macro _v_cmpx_le_u32 dst, src0, src1=
   v_cmpx_le_u32 \dst, \src0, \src1 
.endm

.macro _v_cmpx_le_u64 dst, src0, src1=
   v_cmpx_le_u64 \dst, \src0, \src1 
.endm

.macro _v_cmpx_gt_i16 dst, src0, src1=
   v_cmpx_gt_i16 \dst, \src0, \src1 
.endm

.macro _v_cmpx_gt_i32 dst, src0, src1=
   v_cmpx_gt_i32 \dst, \src0, \src1 
.endm

.macro _v_cmpx_gt_i64 dst, src0, src1=
   v_cmpx_gt_i64 \dst, \src0, \src1 
.endm

.macro _v_cmpx_gt_u16 dst, src0, src1=
   v_cmpx_gt_u16 \dst, \src0, \src1 
.endm

.macro _v_cmpx_gt_u32 dst, src0, src1=
   v_cmpx_gt_u32 \dst, \src0, \src1 
.endm

.macro _v_cmpx_gt_u64 dst, src0, src1=
   v_cmpx_gt_u64 \dst, \src0, \src1 
.endm

.macro _v_cmpx_ne_i16 dst, src0, src1=
   v_cmpx_ne_i16 \dst, \src0, \src1 
.endm

.macro _v_cmpx_ne_i32 dst, src0, src1=
   v_cmpx_ne_i32 \dst, \src0, \src1 
.endm

.macro _v_cmpx_ne_i64 dst, src0, src1=
   v_cmpx_ne_i64 \dst, \src0, \src1 
.endm

.macro _v_cmpx_ne_u16 dst, src0, src1=
   v_cmpx_ne_u16 \dst, \src0, \src1 
.endm

.macro _v_cmpx_ne_u32 dst, src0, src1=
   v_cmpx_ne_u32 \dst, \src0, \src1 
.endm

.macro _v_cmpx_ne_u64 dst, src0, src1=
   v_cmpx_ne_u64 \dst, \src0, \src1 
.endm

.macro _v_cmpx_lg_i16 dst, src0, src1=
   v_cmpx_lg_i16 \dst, \src0, \src1 
.endm

.macro _v_cmpx_lg_i32 dst, src0, src1=
   v_cmpx_lg_i32 \dst, \src0, \src1 
.endm

.macro _v_cmpx_lg_i64 dst, src0, src1=
   v_cmpx_lg_i64 \dst, \src0, \src1 
.endm

.macro _v_cmpx_lg_u16 dst, src0, src1=
   v_cmpx_lg_u16 \dst, \src0, \src1 
.endm

.macro _v_cmpx_lg_u32 dst, src0, src1=
   v_cmpx_lg_u32 \dst, \src0, \src1 
.endm

.macro _v_cmpx_lg_u64 dst, src0, src1=
   v_cmpx_lg_u64 \dst, \src0, \src1 
.endm

.macro _v_cmpx_ge_i16 dst, src0, src1=
   v_cmpx_ge_i16 \dst, \src0, \src1 
.endm

.macro _v_cmpx_ge_i32 dst, src0, src1=
   v_cmpx_ge_i32 \dst, \src0, \src1 
.endm

.macro _v_cmpx_ge_i64 dst, src0, src1=
   v_cmpx_ge_i64 \dst, \src0, \src1 
.endm

.macro _v_cmpx_ge_u16 dst, src0, src1=
   v_cmpx_ge_u16 \dst, \src0, \src1 
.endm

.macro _v_cmpx_ge_u32 dst, src0, src1=
   v_cmpx_ge_u32 \dst, \src0, \src1 
.endm

.macro _v_cmpx_ge_u64 dst, src0, src1=
   v_cmpx_ge_u64 \dst, \src0, \src1 
.endm

.macro _v_cmpx_o_i16 dst, src0, src1=
   v_cmpx_o_i16 \dst, \src0, \src1 
.endm

.macro _v_cmpx_o_i32 dst, src0, src1=
   v_cmpx_o_i32 \dst, \src0, \src1 
.endm

.macro _v_cmpx_o_i64 dst, src0, src1=
   v_cmpx_o_i64 \dst, \src0, \src1 
.endm

.macro _v_cmpx_o_u16 dst, src0, src1=
   v_cmpx_o_u16 \dst, \src0, \src1 
.endm

.macro _v_cmpx_o_u32 dst, src0, src1=
   v_cmpx_o_u32 \dst, \src0, \src1 
.endm

.macro _v_cmpx_o_u64 dst, src0, src1=
   v_cmpx_o_u64 \dst, \src0, \src1 
.endm

.macro _v_cmpx_u_i16 dst, src0, src1=
   v_cmpx_u_i16 \dst, \src0, \src1 
.endm

.macro _v_cmpx_u_i32 dst, src0, src1=
   v_cmpx_u_i32 \dst, \src0, \src1 
.endm

.macro _v_cmpx_u_i64 dst, src0, src1=
   v_cmpx_u_i64 \dst, \src0, \src1 
.endm

.macro _v_cmpx_u_u16 dst, src0, src1=
   v_cmpx_u_u16 \dst, \src0, \src1 
.endm

.macro _v_cmpx_u_u32 dst, src0, src1=
   v_cmpx_u_u32 \dst, \src0, \src1 
.endm

.macro _v_cmpx_u_u64 dst, src0, src1=
   v_cmpx_u_u64 \dst, \src0, \src1 
.endm
.macro _v_mac_f32 c:req, a:req, b:req
    v_fmac_f32 \c, \a, \b
.endmacro

/* scale global load macros */
.macro _s_load_b32 dst base offset
    s_load_dword \dst \base \offset
.endm

.macro _s_load_b64 dst base offset
    s_load_dwordx2 \dst \base \offset
.endm

.macro _s_load_b128 dst base offset
    s_load_dwordx4 \dst \base \offset
.endm

.macro _s_load_b256 dst base offset
    s_load_dwordx8 \dst \base \offset
.endm

.macro _s_load_b512 dst base offset
    s_load_dwordx16 \dst \base \offset
.endm


/* ds operation macros */
.macro _ds_load_u8 dst src offset
    ds_read_u8 \dst \src \offset
.endm

.macro _ds_load_u8_d16_hi dst src offset
    ds_read_u8_d16_hi \dst \src \offset
.endm

.macro _ds_load_u16 dst src offset
    ds_read_u16 \dst \src \offset
.endm

.macro _ds_load_u16_d16_hi dst src offset
    ds_read_u16_d16_hi \dst \src \offset
.endm

.macro _ds_load_b32 dst src offset
    ds_read_b32 \dst \src \offset
.endm

.macro _ds_load_b64 dst src offset
    ds_read_b64 \dst \src \offset
.endm

.macro _ds_load_b128 dst src offset
    ds_read_b128 \dst \src \offset
.endm

.macro _ds_store_b8 dst src offset
    ds_write_b8 \dst \src \offset
.endm

.macro _ds_store_b8_d16_hi dst src offset
    ds_write_b8_d16_hi \dst \src \offset
.endm

.macro _ds_store_b16 dst src offset
    ds_write_b16 \dst \src \offset
.endm

.macro _ds_store_b16_d16_hi dst src offset
    ds_write_b16_d16_hi \dst \src \offset
.endm

.macro _ds_store_b32 dst src offset
    ds_write_b32 \dst \src \offset
.endm

.macro _ds_store_b64 dst src offset
    ds_write_b64 \dst \src \offset
.endm

.macro _ds_store_b128 dst src offset
    ds_write_b128 \dst \src \offset
.endm

.macro _ds_load2_b32 dst src offset1 offset2
    ds_read2_b32 \dst \src \offset1 \offset2
.endm

.macro _ds_load2_b64 dst src offset1 offset2
    ds_read2_b64 \dst \src \offset1 \offset2
.endm

.macro _ds_store2_b32 dst src offset1 offset2
    ds_write2_b32 \dst \src \offset1 \offset2
.endm

.macro _ds_store2_b64 dst src offset1 offset2
    ds_write2_b64 \dst \src \offset1 \offset2
.endm


/* buffer memory operation macros */
.macro _buffer_load_b32 dst voffset base soffset offen ioffset md0 md1 md2
    buffer_load_dword \dst \voffset \base \soffset \offen \ioffset \md0 \md1 \md2
.endm

.macro _buffer_load_b64 dst voffset base soffset offen ioffset md0 md1 md2
    buffer_load_dwordx2 \dst \voffset \base \soffset \offen \ioffset \md0 \md1 \md2
.endm

.macro _buffer_load_b96 dst voffset base soffset offen ioffset md0 md1 md2
    buffer_load_dwordx3 \dst \voffset \base \soffset \offen \ioffset \md0 \md1 \md2
.endm

.macro _buffer_load_b128 dst voffset base soffset offen ioffset md0 md1 md2
    buffer_load_dwordx4 \dst \voffset \base \soffset \offen \ioffset \md0 \md1 \md2
.endm

.macro _buffer_load_d16_b16 dst voffset base soffset offen ioffset md0 md1 md2
    buffer_load_short_d16 \dst \voffset \base \soffset \offen \ioffset \md0 \md1 \md2
.endm

.macro _buffer_load_d16_hi_b16 dst voffset base soffset offen ioffset md0 md1 md2
    buffer_load_short_d16_hi \dst \voffset \base \soffset \offen \ioffset \md0 \md1 \md2
.endm

.macro _buffer_load_d16_u8 dst voffset base soffset offen ioffset md0 md1 md2
    buffer_load_ubyte_d16 \dst \voffset \base \soffset \offen \ioffset \md0 \md1 \md2
.endm

.macro _buffer_load_d16_hi_u8 dst voffset base soffset offen ioffset md0 md1 md2
    buffer_load_ubyte_d16_hi \dst \voffset \base \soffset \offen \ioffset \md0 \md1 \md2
.endm

.macro _buffer_load_u16 dst voffset base soffset offen ioffset md0 md1 md2
    buffer_load_ushort \dst \voffset \base \soffset \offen \ioffset \md0 \md1 \md2
.endm

.macro _buffer_load_b32_dtl voffset base soffset offen ioffset md0 md1 md2
    buffer_load_dword \voffset \base \soffset \offen \ioffset \md0 \md1 \md2
.endm

.macro _buffer_load_b64_dtl voffset base soffset offen ioffset md0 md1 md2
    buffer_load_dwordx2 \voffset \base \soffset \offen \ioffset \md0 \md1 \md2
.endm

.macro _buffer_load_b128_dtl voffset base soffset offen ioffset md0 md1 md2
    buffer_load_dwordx4 \voffset \base \soffset \offen \ioffset \md0 \md1 \md2
.endm

.macro _buffer_load_u16_dtl voffset base soffset offen ioffset md0 md1 md2
    buffer_load_ushort \voffset \base \soffset \offen \ioffset \md0 \md1 \md2
.endm

.macro _buffer_store_b32 src voffset base soffset offen ioffset md0 md1 md2
    buffer_store_dword \src \voffset \base \soffset \offen \ioffset \md0 \md1 \md2
.endm

.macro _buffer_store_b64 src voffset base soffset offen ioffset md0 md1 md2
    buffer_store_dwordx2 \src \voffset \base \soffset \offen \ioffset \md0 \md1 \md2
.endm

.macro _buffer_store_b96 src voffset base soffset offen ioffset md0 md1 md2
    buffer_store_dwordx3 \src \voffset \base \soffset \offen \ioffset \md0 \md1 \md2
.endm

.macro _buffer_store_b128 src voffset base soffset offen ioffset md0 md1 md2
    buffer_store_dwordx4 \src \voffset \base \soffset \offen \ioffset \md0 \md1 \md2
.endm

.macro _buffer_store_b16 src voffset base soffset offen ioffset md0 md1 md2
    buffer_store_short \src \voffset \base \soffset \offen \ioffset \md0 \md1 \md2
.endm

.macro _buffer_store_d16_hi_b16 src voffset base soffset offen ioffset md0 md1 md2
    buffer_store_short_d16_hi \src \voffset \base \soffset \offen \ioffset \md0 \md1 \md2
.endm

.macro _buffer_store_b8 src voffset base soffset offen ioffset md0 md1 md2
    buffer_store_byte \src \voffset \base \soffset \offen \ioffset \md0 \md1 \md2
.endm

.macro _buffer_store_d16_hi_b8 src voffset base soffset offen ioffset md0 md1 md2
    buffer_store_byte_d16_hi \src \voffset \base \soffset \offen \ioffset \md0 \md1 \md2
.endm

.macro _buffer_atomic_cmpswap_b32 dst voffset base soffset offen ioffset md0 md1 md2
    buffer_atomic_cmpswap \dst \voffset \base \soffset \offen \ioffset \md0 \md1 \md2
.endm

.macro _buffer_atomic_cmpswap_b64 dst voffset base soffset offen ioffset md0 md1 md2
    buffer_atomic_cmpswap_x2 \dst \voffset \base \soffset \offen \ioffset \md0 \md1 \md2
.endm


/* buffer memory operation macros */
.macro _global_load_b32 dst base src ioffset md0 md1 md2
    global_load_dword \dst \base \src \ioffset \md0 \md1 \md2
.endm

.macro _global_load_b64 dst base src ioffset md0 md1 md2
    global_load_dwordx2 \dst \base \src \ioffset \md0 \md1 \md2
.endm

.macro _global_load_b96 dst base src ioffset md0 md1 md2
    global_load_dwordx3 \dst \base \src \ioffset \md0 \md1 \md2
.endm

.macro _global_load_b128 dst base src ioffset md0 md1 md2
    global_load_dwordx4 \dst \base \src \ioffset \md0 \md1 \md2
.endm

.macro _global_load_d16_b16 dst base src ioffset md0 md1 md2
    global_load_short_d16 \dst \base \src \ioffset \md0 \md1 \md2
.endm

.macro _global_load_d16_hi_b16 dst base src ioffset md0 md1 md2
    global_load_short_d16_hi \dst \base \src \ioffset \md0 \md1 \md2
.endm

.macro _global_load_d16_u8 dst base src ioffset md0 md1 md2
    global_load_ubyte_d16 \dst \base \src \ioffset \md0 \md1 \md2
.endm

.macro _global_load_d16_hi_u8 dst base src ioffset md0 md1 md2
    global_load_ubyte_d16_hi \dst \base \src \ioffset \md0 \md1 \md2
.endm

.macro _global_load_u16 dst base src ioffset md0 md1 md2
    global_load_ushort \dst \base \src \ioffset \md0 \md1 \md2
.endm

.macro _global_store_b32 base src src2 md0 md1 md2
    global_store_dword \base \src \src2 \md0 \md1 \md2
.endm

.macro _global_store_b64 base src src2 md0 md1 md2
    global_store_dwordx2 \base \src \src2 \md0 \md1 \md2
.endm

.macro _global_store_b96 base src src2 md0 md1 md2
    global_store_dwordx3 \base \src \src2 \md0 \md1 \md2
.endm

.macro _global_store_b128 base src src2 md0 md1 md2
    global_store_dwordx4 \base \src \src2 \md0 \md1 \md2
.endm

.macro _global_store_d16_b16 base src src2 md0 md1 md2
    global_store_short \base \src \src2 \md0 \md1 \md2
.endm

.macro _global_store_d16_hi_b16 base src src2 md0 md1 md2
    global_store_short_d16_hi \base \src \src2 \md0 \md1 \md2
.endm

.macro _global_store_d16_u8 base src src2 md0 md1 md2
    global_store_ubyte_d16 \base \src \src2 \md0 \md1 \md2
.endm

.macro _global_store_d16_hi_u8 base src src2 md0 md1 md2
    global_store_ubyte_d16_hi \base \src \src2 \md0 \md1 \md2
.endm

.macro _global_store_u16 base src src2 md0 md1 md2
    global_store_ushort \base \src \src2 \md0 \md1 \md2
.endm

.macro _global_atomic_cmpswap_b32 tmp base data src ioffset md
    global_atomic_cmpswap \tmp \base \data \src \ioffset \md
.endm

.macro _global_atomic_cmpswap_b64 tmp base data src ioffset md
    global_atomic_cmpswap_x2 \tmp \base \data \src \ioffset \md
.endm


/******************************************/
/* Magic div and mod functions            */
/******************************************/
.macro V_MAGIC_DIV dstIdx:req, dividend:req, magicNumber:req, magicShift:req, magicA:req
    v_mul_hi_u32 v[\dstIdx+1], \dividend, \magicNumber
    v_mul_lo_u32 v[\dstIdx+0], \dividend, \magicA
    _v_add_u32 v[\dstIdx+0], v[\dstIdx+0], v[\dstIdx+1]
    v_lshrrev_b32 v[\dstIdx+0], \magicShift, v[\dstIdx+0]
.endm

/******************************************/
/* VGPR Assignments                       */
/******************************************/
/* ValuC range: [0-0), serializedStore enabled */
.set vgprValuC, 0
/* ValuA/B   Xn=PLR buffer idx,  In=InnerUnroll idx */
.set vgprValuA_X0_I0, 0
.set vgprValuA_X1_I0, 16
.set vgprValuA_X2_I0, 32
.set vgprValuA_X3_I0, 48
.set vgprG2LA, 182
.set vgprValuB_X0_I0, 64
.set vgprValuB_X1_I0, 78
.set vgprValuB_X2_I0, 92
.set vgprValuB_X3_I0, 106
.set vgprG2LB, 214
.set vgprLocalWriteAddrA, 120
.set vgprLocalWriteAddrB, 121
.set vgprGlobalReadOffsetA, 122
.set vgprGlobalReadOffsetB, 154
.set vgprLocalReadAddrA, 242
.set vgprLocalReadAddrB, 243
.set vgprSerial, 244
/* Num VGPR=256 */
/* Num AccVGPR=224 */

/******************************************/
/* SGPR Assignments                       */
/******************************************/
.set sgprKernArgAddress, 0 // (2)
.set sgprWorkGroup0, 2 // (1)
.set sgprWorkGroup1, 3 // (1)
.set sgprWorkGroup2, 4 // (1)
.set sgprLoopCounterL, 5 // (1)
.set sgprOrigLoopCounter, 6 // (1)
.set sgprSrdA, 8 // (4)
.set sgprSrdB, 12 // (4)
.set sgprSrdD, 16 // (4)
.set sgprSrdC, 20 // (4)
.set sgprTensor2dSizeA, 24 // (2)
.set sgprTensor2dSizeB, 26 // (2)
.set sgprAddressD, 28 // (2)
.set sgprAddressC, 30 // (2)
.set sgprAddressA, 32 // (2)
.set sgprAddressB, 34 // (2)
.set sgprAlpha, 36 // (1)
.set sgprBeta, 37 // (1)
.set sgprStridesD, 38 // (2)
.set sgprStridesC, 40 // (2)
.set sgprStridesA, 42 // (2)
.set sgprStridesB, 44 // (2)
.set sgprSizesFree, 46 // (3)
.set sgprSizesSum, 49 // (1)
.set sgprOrigStaggerUIter, 50 // (1)
.set sgprNumWorkGroups0, 51 // (1)
.set sgprNumWorkGroups1, 52 // (1)
.set sgprNumFullBlocks, 53 // (1)
.set sgprWgmRemainder1, 54 // (1)
.set sgprMagicNumberWgmRemainder1, 55 // (1)
.set sgprShadowLimitA, 0 // (2)
.set sgprShadowLimitB, 28 // (2)
.set sgprStaggerUIter, 7 // (1)
.set sgprWrapUA, 30 // (2)
.set sgprWrapUB, 32 // (2)
.set sgprGlobalReadIncsA, 34 // (1)
.set sgprGlobalReadIncsB, 35 // (1)
/* max SGPR=63 */

/* Size Assignments */
.set sgprSizeI, sgprSizesFree+0
.set sgprSizeJ, sgprSizesFree+1
.set sgprSizeK, sgprSizesFree+2
.set sgprSizeL, sgprSizesSum+0

/* Stride Assignments */
.set constStrideD0I, 1
.set sgprStrideD1J, sgprStridesD+0
.set sgprStrideDK, sgprStridesD+1
.set constStrideC0I, 1
.set sgprStrideC1J, sgprStridesC+0
.set sgprStrideCK, sgprStridesC+1
.set constStrideAL, 1
.set sgprStrideA0I, sgprStridesA+0
.set sgprStrideAK, sgprStridesA+1
.set constStrideBL, 1
.set sgprStrideB1J, sgprStridesB+0
.set sgprStrideBK, sgprStridesB+1

.set MT0, 256
.set MT1, 224
.set DepthU, 128
.set GSU, 1
.set BpeA, 1
.set BpeALog2, 0
.set BpeB, 1
.set BpeBLog2, 0
/* Number of elements to shift-left SRD */
.set SrdShiftLeftA, 4
.set SrdShiftLeftB, 4
/* 2GB limit - set offsets to -1 to exceed this and clamp */
.set BufferLimitA, 0xffffffff
.set BufferLimitB, 0xffffffff
.set BufferOOB, 0xfffff000

/******************************************/
/* Bits 127:96 of SRD.                    */
/* hex: 0x00020000                        */
/* dst_sel_x (3b): 0                      */
/* dst_sel_y (3b): 0                      */
/* dst_sel_z (3b): 0                      */
/* dst_sel_w (3b): 0                      */
/* num_format (3b): 0                     */
/* data_format (4b): 4                    */
/* user_vm_enable (1b): 0                 */
/* user_vm_mode (1b): 0                   */
/* index_stride (2b): 0                   */
/* add_tid_enable (1b): 0                 */
/* _unusedA (3b): 0                       */
/* nv (1b): 0                             */
/* _unusedB (2b): 0                       */
/* type (2b): 0                           */
/******************************************/
.set Srd127_96, 0x00020000

/* Global Offset A */
.macro GLOBAL_OFFSET_A vgprAddr:req vgprOffsetL:req vgprOffset0I:req vgprTmp:req
v_mul_lo_u32 v[\vgprTmp+0], s[sgprStrideA0I], v[\vgprOffset0I] // mul d1 lower
_v_add_co_u32 v[\vgprAddr+0], vcc, v[\vgprOffsetL], v[\vgprTmp+0] // accumulate K lower
_v_add_u32 v[\vgprAddr+0], 0x4, v[\vgprAddr+0]     // add prepad for pointer shift
                                                   // offset *= bytes/element (multiplier is 1, do nothing)
.endm

/* Global Offset B */
.macro GLOBAL_OFFSET_B vgprAddr:req vgprOffsetL:req vgprOffset1J:req vgprTmp:req
v_mul_lo_u32 v[\vgprTmp+0], s[sgprStrideB1J], v[\vgprOffset1J] // mul d1 lower
_v_add_co_u32 v[\vgprAddr+0], vcc, v[\vgprOffsetL], v[\vgprTmp+0] // accumulate K lower
_v_add_u32 v[\vgprAddr+0], 0x4, v[\vgprAddr+0]     // add prepad for pointer shift
                                                   // offset *= bytes/element (multiplier is 1, do nothing)
.endm

/******************************************/
/* Dynamic Scalar Divide: vQuotient=vDividend/vDivisor; vRemainder=vDividend%vDivisor; */
/******************************************/
.macro DYNAMIC_VECTOR_DIVIDE vQuotient vRemainder vDividend vDivisor vTmp0 vTmp1 sTmp
v_cvt_f32_u32 v[\vQuotient], v[\vDivisor]          // 
v_rcp_f32 v[\vQuotient], v[\vQuotient]             // 
v_mul_f32 v[\vQuotient], 0x4f800000, v[\vQuotient] // 
v_cvt_u32_f32 v[\vQuotient], v[\vQuotient]         // 
v_mul_lo_u32 v[\vRemainder], v[\vDivisor], v[\vQuotient] // 
v_mul_hi_u32 v[\vTmp0], v[\vDivisor], v[\vQuotient] // 
_v_sub_co_u32 v[\vTmp1], vcc, 0x0, v[\vRemainder]  // 
v_cmp_ne_i32 s[\sTmp:\sTmp+1], 0x0, v[\vTmp0]      // 
v_cndmask_b32 v[\vRemainder], v[\vTmp1], v[\vRemainder], s[\sTmp:\sTmp+1] // 
v_mul_hi_u32 v[\vRemainder], v[\vRemainder], v[\vQuotient] // 
_v_sub_co_u32 v[\vTmp0], vcc, v[\vQuotient], v[\vRemainder] // 
_v_add_co_u32 v[\vQuotient], vcc, v[\vQuotient], v[\vRemainder] // 
v_cndmask_b32 v[\vQuotient], v[\vQuotient], v[\vTmp0], s[\sTmp:\sTmp+1] // 
v_mul_hi_u32 v[\vQuotient], v[\vQuotient], v[\vDividend] // 
v_mul_lo_u32 v[\vRemainder], v[\vQuotient], v[\vDivisor] // 
_v_sub_co_u32 v[\vTmp0], vcc, v[\vDividend], v[\vRemainder] // 
v_cmp_ge_u32 s[\sTmp:\sTmp+1], v[\vDividend], v[\vRemainder] // 
_v_add_co_u32 v[\vRemainder], vcc, 0x1, v[\vQuotient] // 
_v_add_co_u32 v[\vTmp1], vcc, -1, v[\vQuotient]    // 
v_cmp_le_u32 vcc, v[\vDivisor], v[\vTmp0]          // 
s_and_b64 vcc, s[\sTmp:\sTmp+1], vcc               // 
v_cndmask_b32 v[\vQuotient], v[\vQuotient], v[\vRemainder], vcc // 
v_cndmask_b32 v[\vQuotient], v[\vTmp1], v[\vQuotient], s[\sTmp:\sTmp+1] // 
v_cmp_ne_i32 vcc, 0x0, v[\vDivisor]                // 
v_cndmask_b32 v[\vQuotient], -1, v[\vQuotient], vcc // final result
v_mul_lo_u32 v[\vRemainder], v[\vQuotient], v[\vDivisor] // 
_v_sub_co_u32 v[\vRemainder], vcc, v[\vDividend], v[\vRemainder] // final result
.endm


	;; [unrolled: 1-line block ×3, first 2 shown]
/******************************************/
/* Allocate Resources                     */
/******************************************/

Cijk_Alik_Bljk_B8B8S_BH_MT256x224x128_MI16x16x32x1_SN_1LDSB1_APM1_AF0EM16_AF1EM16_AMAS3_ASE_ASGT3512_ASLT_ASM_ASAE01_ASCE01_ASEM128_BL1_BS1_CLR0_DTVA0_DTVB0_ETSP_EPS1_ELFLR4_EMLL0_FSSC10_FL1_GLVWA4_GLVWB4_GRCGA1_GRPM1_GRVW4_GSU1_GSUASB_GLS0_IU1_K1_LBSPPA1024_LBSPPB128_LPA8_LPB8_LRVW8_LWPMn1_MIAV0_MKFGSU256_NTA0_NTB0_NTC3_NTD3_NEPBS0_NLCA1_NLCB1_ONLL1_PGR2_PLR5_PKA0_SIA3_SLW1_SS1_SU4_SUM0_SUS128_SPO1_SRVW0_SSO0_SVW8_TSGRA0_TSGRB0_TT8_112_TLDS1_UMLDSA1_UMLDSB1_USFGROn1_VAW1_VSn1_VW8_VWB1_VFLRP0_WSGRA0_WSGRB0_WG32_8_1_WGM16_preloaded: // Kernel start when preloading
s_setprio 3                                        // optimization store

/* Load Kernel Args */
_s_load_b512 s[24:39], s[sgprKernArgAddress:sgprKernArgAddress+1], 0x0 // 
_s_load_b512 s[40:55], s[sgprKernArgAddress:sgprKernArgAddress+1], 0x40 // 
s_mov_b32 m0, 0xf800                               // LDS clamp at 63488 bytes
v_mov_b32 v[vgprSerial], v0                        // thread serial id

/******************************************/
/* Local Read Addresses                   */
/******************************************/


/* local read addresses: tile assignments a/b */

/*lr0I*/
v_and_b32 v1, 63, v[vgprSerial]                    // 0. thread id in wave: wtid = tid % wavelength(64)
v_and_b32 v0, 15, v1                               // 1. N offset: nIdx = wtid % MI_N(16)
v_lshlrev_b32 v0, 0x7, v0                          // 1. N offset: nOffset = nIdx * nStride(128)
                                                   // 2. block offset: bnIdx = bnIdx % num1DBlocks(1) is 0. do nothing
v_lshlrev_b32 v0, 0x3, v0                          // 4. apply VectorWidth: bnOffset = bnOffset * vw(8)
v_lshrrev_b32 v1, 4, v1                            // 5. K offset: kIdx = wtid / (MIN(16) * MIBB(1))
v_lshlrev_b32 v1, 0x3, v1                          // 5. K offset: lrKOffset = kIdx * mStride(8)
_v_add_u32 v0, v1, v0                              // 6. offset in wave: lrOffset = bnOffset + lrKOffset
v_lshrrev_b32 v2, 6, v[vgprSerial]                 // 7. wave offset in N dimen: wtid = tid / dividedForWaveId(64)
v_and_b32 v1, 1, v2                                // 7. wave offset in M dimen: wtid0 = wtid / num1DWaves(2)
v_lshlrev_b32 v1, 0xe, v1                          // 7. wave offset in M dimen: wOffset = wtid0 * W0Stride(16384)
_v_add_u32 v0, v1, v0                              // 8. final local read offset: flrOffset = lrOffset + WOffset
/*lr1J*/
v_and_b32 v2, 63, v[vgprSerial]                    // 0. thread id in wave: wtid = tid % wavelength(64)
v_and_b32 v1, 15, v2                               // 1. N offset: nIdx = wtid % MI_N(16)
v_lshlrev_b32 v1, 0x7, v1                          // 1. N offset: nOffset = nIdx * nStride(128)
                                                   // 2. block offset: bnIdx = bnIdx % num1DBlocks(1) is 0. do nothing
                                                   // 4. apply VectorWidth: bnOffset = bnOffset * vw(1) (multiplier is 1, do nothing)
v_lshrrev_b32 v2, 4, v2                            // 5. K offset: kIdx = wtid / (MIN(16) * MIBB(1))
v_lshlrev_b32 v2, 0x3, v2                          // 5. K offset: lrKOffset = kIdx * mStride(8)
_v_add_u32 v1, v2, v1                              // 6. offset in wave: lrOffset = bnOffset + lrKOffset
v_lshrrev_b32 v3, 7, v[vgprSerial]                 // 7. wave offset in N dimen: wtid = tid / dividedForWaveId(128)
v_and_b32 v2, 1, v3                                // 7. wave offset in M dimen: wtid0 = wtid / num1DWaves(2)
v_lshlrev_b32 v2, 0xb, v2                          // 7. wave offset in M dimen: wOffset = wtid0 * W0Stride(2048)
_v_add_u32 v1, v2, v1                              // 8. final local read offset: flrOffset = lrOffset + WOffset


/* local read addresses: final offsets a */

v_lshlrev_b32 v[vgprLocalReadAddrA], 0x0, v0       // Final Offset: offset = (lro0)*bpe
v_lshrrev_b32 v0, 10, v[vgprLocalReadAddrA]        // Final Offset: padding 8 per block 1024
v_lshlrev_b32 v0, 0x3, v0                          // Final Offset: padding 8 per block 1024
_v_add_u32 v[vgprLocalReadAddrA], v0, v[vgprLocalReadAddrA] // Final Offset: add padding 8 per block 1024


/* local read addresses: final offsets b */

v_lshlrev_b32 v[vgprLocalReadAddrB], 0x0, v1       // Final Offset: offset = (lro1)*bpe
v_lshrrev_b32 v0, 7, v[vgprLocalReadAddrB]         // Final Offset: padding 8 per block 128
v_lshlrev_b32 v0, 0x3, v0                          // Final Offset: padding 8 per block 128
_v_add_u32 v[vgprLocalReadAddrB], v0, v[vgprLocalReadAddrB] // Final Offset: add padding 8 per block 128


/* local read addresses: declare addresses a */

/* N/A */


/* local read addresses: declare addresses b */

_v_add_co_u32 v[vgprLocalReadAddrB+0], vcc, 0x8100, v[vgprLocalReadAddrB+0] //  += LdsOffsetB (lower)


/* global read addresses: tile offset assignment a */

/* LVCA = 32 */
/* v0 = (local)groA-tile = serial/LVCA (note (wgA*MTA) will be added to SRD) */
/* v1 = groA-unroll = serial%LVCA */
v_lshrrev_b32 v0, 5, v[vgprSerial]                 // v0 = v[vgprSerial] / 32
v_and_b32 v1, 31, v[vgprSerial]                    // v1 = v[vgprSerial] % 32
/* gro-unroll *= glvw */
v_lshlrev_b32 v1, 0x2, v1                          // v1 = v1 * 4


/* global read addresses: tile offset assignment b */

/* LVCB = 32 */
/* v2 = (local)groB-tile = serial/LVCB (note (wgB*MTB) will be added to SRD) */
/* v3 = groB-unroll = serial%LVCB */
v_lshrrev_b32 v2, 5, v[vgprSerial]                 // v2 = v[vgprSerial] / 32
v_and_b32 v3, 31, v[vgprSerial]                    // v3 = v[vgprSerial] % 32
/* gro-unroll *= glvw */
v_lshlrev_b32 v3, 0x2, v3                          // v3 = v3 * 4


/******************************************/
/* Local Write Addresses                  */
/******************************************/

/* lwaTileAssignmentA = v0 */

/* lwaTileAssignmentB = v2 */

/* lwaUnrollAssignmentA = v1 */

/* lwaUnrollAssignmentB = v3 */


/* local write addresses: first offset a */

v_mul_u32_u24 v[vgprLocalWriteAddrA], 0x80, v0     // lwAL**(DepthU_Compute + PAD)
_v_add_lshl_u32 v[vgprLocalWriteAddrA], v1, v[vgprLocalWriteAddrA], 0x0 // lwFOA = (lwAA + lwAL*(DepthU+PAD))*bpe
v_lshrrev_b32 v4, 10, v[vgprLocalWriteAddrA]       // padding 8 per block 1024
v_lshlrev_b32 v4, 0x3, v4                          // padding 8 per block 1024
_v_add_u32 v[vgprLocalWriteAddrA], v4, v[vgprLocalWriteAddrA] // add padding 8 per block 1024


/* local write addresses: first offset b */

v_mul_u32_u24 v[vgprLocalWriteAddrB], 0x80, v2     // lwBL**(DepthU_Compute + PAD)
_v_add_lshl_u32 v[vgprLocalWriteAddrB], v3, v[vgprLocalWriteAddrB], 0x0 // lwFOB = (lwBB + lwBL*(DepthU+PAD))*bpe
v_lshrrev_b32 v4, 7, v[vgprLocalWriteAddrB]        // padding 8 per block 128
v_lshlrev_b32 v4, 0x3, v4                          // padding 8 per block 128
_v_add_u32 v[vgprLocalWriteAddrB], v4, v[vgprLocalWriteAddrB] // add padding 8 per block 128
_v_add_co_u32 v[vgprLocalWriteAddrB], vcc, 0x8100, v[vgprLocalWriteAddrB] // lwFOB = lwB1J + lwBL*MT1J + LDS_OFFSET_B=33024*1


	;; [unrolled: 1-line block ×7, first 2 shown]
s_waitcnt lgkmcnt(0)                               // wait for 128 bytes of kern args
s_mov_b64 s[sgprSrdC+0:sgprSrdC+0+1], s[sgprAddressC+0:sgprAddressC+0+1] // copy addressC
s_mov_b64 s[sgprSrdD+0:sgprSrdD+0+1], s[sgprAddressD+0:sgprAddressD+0+1] // copy addressD
s_sub_u32 s[sgprSrdA+0], s[sgprAddressA+0], 4      // pre-pad to make room for possible pointer shift
s_subb_u32 s[sgprSrdA+1], s[sgprAddressA+1], 0     // pre-pad to make room for possible pointer shift
s_sub_u32 s[sgprSrdB+0], s[sgprAddressB+0], 4      // pre-pad to make room for possible pointer shift
s_subb_u32 s[sgprSrdB+1], s[sgprAddressB+1], 0     // pre-pad to make room for possible pointer shift

.set AddressD, UNDEF
.set AddressC, UNDEF
.set AddressA, UNDEF
.set AddressB, UNDEF

/* Short circuit condition if Alpha == 0, then sumDims=0 */
v_cmp_eq_f32 vcc, s[sgprAlpha], 0.0                // Alpha == 0.0f ?
s_cbranch_vccz label_AlphaNonZero                  // branch if alpha != 0
s_mov_b32 s[sgprSizesSum+0], 0x0                   // Set summation dim=0 if Alpha == 0
label_AlphaNonZero:


	;; [unrolled: 1-line block ×3, first 2 shown]
/******************************************/
/* Begin setupNewTile, isPap=False           */
/******************************************/


/* global read addresses: work-group */

/* graWorkGroup mapping */
s_mov_b32 s61, 0x8000001L                          // magic number for WGM==16
s_mul_hi_u32 s59, s[sgprWorkGroup1], s61           // s_magic mul
s_mul_i32 s58, s[sgprWorkGroup1], s61              // s_magic mul
s_lshr_b64 s[58:59], s[58:59], 31                  // sMagicDiv
s_mul_i32 s59, s58, 16                             // quotient * non-magic divisor
s_sub_u32 s59, s[sgprWorkGroup1], s59              // WorkGroup1=remainder
s_mul_i32 s59, s59, s[sgprNumWorkGroups0]          // (wg1 % WGM)*nwg0
s_add_u32 s59, s59, s[sgprWorkGroup0]              // wgSerial = wg0 + (wg1 % WGM)*nwg1
s_cmp_ge_u32 s58, s[sgprNumFullBlocks]             // blockId >= numFullBlocks ?
s_cmov_b32 s61, s[sgprMagicNumberWgmRemainder1]    // 
s_cselect_b32 s60, s[sgprWgmRemainder1], 16        // 
s_mul_hi_u32 s3, s59, s61                          // s_magic mul
s_mul_i32 s2, s59, s61                             // s_magic mul
s_lshr_b64 s[2:3], s[2:3], 31                      // sMagicDiv
s_mul_i32 s[sgprWorkGroup1], s[sgprWorkGroup0], s60 // quotient * non-magic divisor
s_sub_u32 s[sgprWorkGroup1], s59, s[sgprWorkGroup1] // WorkGroup1=remainder
s_mul_i32 s58, s58, 16                             // blockId * WGM
s_add_u32 s[sgprWorkGroup1], s[sgprWorkGroup1], s58 // wg1 += blockId * WGM


/* global read addresses: unroll assignment a */

/* v1 */


/* global read addresses: unroll assignment b */

/* v3 */


/* global read addresses: other free assignments */

/* s[sgprWorkGroup2] */


/* global read addresses: tile offsets a */

v_mov_b32 v4, v0                                   // groA0I_0
_v_add_co_u32 v5, vcc, 8, v4                       // groA0I_1 += LSPA
_v_add_co_u32 v6, vcc, 8, v5                       // groA0I_2 += LSPA
_v_add_co_u32 v7, vcc, 8, v6                       // groA0I_3 += LSPA
_v_add_co_u32 v8, vcc, 8, v7                       // groA0I_4 += LSPA
_v_add_co_u32 v9, vcc, 8, v8                       // groA0I_5 += LSPA
_v_add_co_u32 v10, vcc, 8, v9                      // groA0I_6 += LSPA
_v_add_co_u32 v11, vcc, 8, v10                     // groA0I_7 += LSPA
_v_add_co_u32 v12, vcc, 8, v11                     // groA0I_8 += LSPA
_v_add_co_u32 v13, vcc, 8, v12                     // groA0I_9 += LSPA
_v_add_co_u32 v14, vcc, 8, v13                     // groA0I_10 += LSPA
_v_add_co_u32 v15, vcc, 8, v14                     // groA0I_11 += LSPA
_v_add_co_u32 v16, vcc, 8, v15                     // groA0I_12 += LSPA
_v_add_co_u32 v17, vcc, 8, v16                     // groA0I_13 += LSPA
_v_add_co_u32 v18, vcc, 8, v17                     // groA0I_14 += LSPA
_v_add_co_u32 v19, vcc, 8, v18                     // groA0I_15 += LSPA
_v_add_co_u32 v20, vcc, 8, v19                     // groA0I_16 += LSPA
_v_add_co_u32 v21, vcc, 8, v20                     // groA0I_17 += LSPA
_v_add_co_u32 v22, vcc, 8, v21                     // groA0I_18 += LSPA
_v_add_co_u32 v23, vcc, 8, v22                     // groA0I_19 += LSPA
_v_add_co_u32 v24, vcc, 8, v23                     // groA0I_20 += LSPA
_v_add_co_u32 v25, vcc, 8, v24                     // groA0I_21 += LSPA
_v_add_co_u32 v26, vcc, 8, v25                     // groA0I_22 += LSPA
_v_add_co_u32 v27, vcc, 8, v26                     // groA0I_23 += LSPA
_v_add_co_u32 v28, vcc, 8, v27                     // groA0I_24 += LSPA
_v_add_co_u32 v29, vcc, 8, v28                     // groA0I_25 += LSPA
_v_add_co_u32 v30, vcc, 8, v29                     // groA0I_26 += LSPA
_v_add_co_u32 v31, vcc, 8, v30                     // groA0I_27 += LSPA
_v_add_co_u32 v32, vcc, 8, v31                     // groA0I_28 += LSPA
_v_add_co_u32 v33, vcc, 8, v32                     // groA0I_29 += LSPA
_v_add_co_u32 v34, vcc, 8, v33                     // groA0I_30 += LSPA
_v_add_co_u32 v35, vcc, 8, v34                     // groA0I_31 += LSPA


/* global read addresses: tile offsets b */

v_mov_b32 v36, v2                                  // groB1J_0
_v_add_co_u32 v37, vcc, 8, v36                     // groB1J_1 += LSPB
_v_add_co_u32 v38, vcc, 8, v37                     // groB1J_2 += LSPB
_v_add_co_u32 v39, vcc, 8, v38                     // groB1J_3 += LSPB
_v_add_co_u32 v40, vcc, 8, v39                     // groB1J_4 += LSPB
_v_add_co_u32 v41, vcc, 8, v40                     // groB1J_5 += LSPB
_v_add_co_u32 v42, vcc, 8, v41                     // groB1J_6 += LSPB
_v_add_co_u32 v43, vcc, 8, v42                     // groB1J_7 += LSPB
_v_add_co_u32 v44, vcc, 8, v43                     // groB1J_8 += LSPB
_v_add_co_u32 v45, vcc, 8, v44                     // groB1J_9 += LSPB
_v_add_co_u32 v46, vcc, 8, v45                     // groB1J_10 += LSPB
_v_add_co_u32 v47, vcc, 8, v46                     // groB1J_11 += LSPB
_v_add_co_u32 v48, vcc, 8, v47                     // groB1J_12 += LSPB
_v_add_co_u32 v49, vcc, 8, v48                     // groB1J_13 += LSPB
_v_add_co_u32 v50, vcc, 8, v49                     // groB1J_14 += LSPB
_v_add_co_u32 v51, vcc, 8, v50                     // groB1J_15 += LSPB
_v_add_co_u32 v52, vcc, 8, v51                     // groB1J_16 += LSPB
_v_add_co_u32 v53, vcc, 8, v52                     // groB1J_17 += LSPB
_v_add_co_u32 v54, vcc, 8, v53                     // groB1J_18 += LSPB
_v_add_co_u32 v55, vcc, 8, v54                     // groB1J_19 += LSPB
_v_add_co_u32 v56, vcc, 8, v55                     // groB1J_20 += LSPB
_v_add_co_u32 v57, vcc, 8, v56                     // groB1J_21 += LSPB
_v_add_co_u32 v58, vcc, 8, v57                     // groB1J_22 += LSPB
_v_add_co_u32 v59, vcc, 8, v58                     // groB1J_23 += LSPB
_v_add_co_u32 v60, vcc, 8, v59                     // groB1J_24 += LSPB
_v_add_co_u32 v61, vcc, 8, v60                     // groB1J_25 += LSPB
_v_add_co_u32 v62, vcc, 8, v61                     // groB1J_26 += LSPB
_v_add_co_u32 v63, vcc, 8, v62                     // groB1J_27 += LSPB


/* global read addresses: unroll offsets a */

v_mov_b32 v64, v1                                  // groAL_0


/* global read addresses: unroll offsets b */

v_mov_b32 v65, v3                                  // groBL_0


/* global read addresses: final offsets a */

GLOBAL_OFFSET_A vgprGlobalReadOffsetA+0, 64,  4, 66 // gROA_0_0_0_0
GLOBAL_OFFSET_A vgprGlobalReadOffsetA+1, 64,  5, 66 // gROA_0_0_1_0
GLOBAL_OFFSET_A vgprGlobalReadOffsetA+2, 64,  6, 66 // gROA_0_0_2_0
GLOBAL_OFFSET_A vgprGlobalReadOffsetA+3, 64,  7, 66 // gROA_0_0_3_0
GLOBAL_OFFSET_A vgprGlobalReadOffsetA+4, 64,  8, 66 // gROA_0_0_4_0
GLOBAL_OFFSET_A vgprGlobalReadOffsetA+5, 64,  9, 66 // gROA_0_0_5_0
GLOBAL_OFFSET_A vgprGlobalReadOffsetA+6, 64, 10, 66 // gROA_0_0_6_0
GLOBAL_OFFSET_A vgprGlobalReadOffsetA+7, 64, 11, 66 // gROA_0_0_7_0
GLOBAL_OFFSET_A vgprGlobalReadOffsetA+8, 64, 12, 66 // gROA_0_0_8_0
GLOBAL_OFFSET_A vgprGlobalReadOffsetA+9, 64, 13, 66 // gROA_0_0_9_0
GLOBAL_OFFSET_A vgprGlobalReadOffsetA+10, 64, 14, 66 // gROA_0_0_10_0
GLOBAL_OFFSET_A vgprGlobalReadOffsetA+11, 64, 15, 66 // gROA_0_0_11_0
GLOBAL_OFFSET_A vgprGlobalReadOffsetA+12, 64, 16, 66 // gROA_0_0_12_0
GLOBAL_OFFSET_A vgprGlobalReadOffsetA+13, 64, 17, 66 // gROA_0_0_13_0
GLOBAL_OFFSET_A vgprGlobalReadOffsetA+14, 64, 18, 66 // gROA_0_0_14_0
GLOBAL_OFFSET_A vgprGlobalReadOffsetA+15, 64, 19, 66 // gROA_0_0_15_0
GLOBAL_OFFSET_A vgprGlobalReadOffsetA+16, 64, 20, 66 // gROA_0_0_16_0
GLOBAL_OFFSET_A vgprGlobalReadOffsetA+17, 64, 21, 66 // gROA_0_0_17_0
GLOBAL_OFFSET_A vgprGlobalReadOffsetA+18, 64, 22, 66 // gROA_0_0_18_0
GLOBAL_OFFSET_A vgprGlobalReadOffsetA+19, 64, 23, 66 // gROA_0_0_19_0
GLOBAL_OFFSET_A vgprGlobalReadOffsetA+20, 64, 24, 66 // gROA_0_0_20_0
GLOBAL_OFFSET_A vgprGlobalReadOffsetA+21, 64, 25, 66 // gROA_0_0_21_0
GLOBAL_OFFSET_A vgprGlobalReadOffsetA+22, 64, 26, 66 // gROA_0_0_22_0
GLOBAL_OFFSET_A vgprGlobalReadOffsetA+23, 64, 27, 66 // gROA_0_0_23_0
GLOBAL_OFFSET_A vgprGlobalReadOffsetA+24, 64, 28, 66 // gROA_0_0_24_0
GLOBAL_OFFSET_A vgprGlobalReadOffsetA+25, 64, 29, 66 // gROA_0_0_25_0
GLOBAL_OFFSET_A vgprGlobalReadOffsetA+26, 64, 30, 66 // gROA_0_0_26_0
GLOBAL_OFFSET_A vgprGlobalReadOffsetA+27, 64, 31, 66 // gROA_0_0_27_0
GLOBAL_OFFSET_A vgprGlobalReadOffsetA+28, 64, 32, 66 // gROA_0_0_28_0
GLOBAL_OFFSET_A vgprGlobalReadOffsetA+29, 64, 33, 66 // gROA_0_0_29_0
GLOBAL_OFFSET_A vgprGlobalReadOffsetA+30, 64, 34, 66 // gROA_0_0_30_0
GLOBAL_OFFSET_A vgprGlobalReadOffsetA+31, 64, 35, 66 // gROA_0_0_31_0


/* global read addresses: final offsets b */

GLOBAL_OFFSET_B vgprGlobalReadOffsetB+0, 65, 36, 4 // gROB_0_0_0_0
GLOBAL_OFFSET_B vgprGlobalReadOffsetB+1, 65, 37, 4 // gROB_0_0_1_0
GLOBAL_OFFSET_B vgprGlobalReadOffsetB+2, 65, 38, 4 // gROB_0_0_2_0
GLOBAL_OFFSET_B vgprGlobalReadOffsetB+3, 65, 39, 4 // gROB_0_0_3_0
GLOBAL_OFFSET_B vgprGlobalReadOffsetB+4, 65, 40, 4 // gROB_0_0_4_0
GLOBAL_OFFSET_B vgprGlobalReadOffsetB+5, 65, 41, 4 // gROB_0_0_5_0
GLOBAL_OFFSET_B vgprGlobalReadOffsetB+6, 65, 42, 4 // gROB_0_0_6_0
GLOBAL_OFFSET_B vgprGlobalReadOffsetB+7, 65, 43, 4 // gROB_0_0_7_0
GLOBAL_OFFSET_B vgprGlobalReadOffsetB+8, 65, 44, 4 // gROB_0_0_8_0
GLOBAL_OFFSET_B vgprGlobalReadOffsetB+9, 65, 45, 4 // gROB_0_0_9_0
GLOBAL_OFFSET_B vgprGlobalReadOffsetB+10, 65, 46, 4 // gROB_0_0_10_0
GLOBAL_OFFSET_B vgprGlobalReadOffsetB+11, 65, 47, 4 // gROB_0_0_11_0
GLOBAL_OFFSET_B vgprGlobalReadOffsetB+12, 65, 48, 4 // gROB_0_0_12_0
GLOBAL_OFFSET_B vgprGlobalReadOffsetB+13, 65, 49, 4 // gROB_0_0_13_0
GLOBAL_OFFSET_B vgprGlobalReadOffsetB+14, 65, 50, 4 // gROB_0_0_14_0
GLOBAL_OFFSET_B vgprGlobalReadOffsetB+15, 65, 51, 4 // gROB_0_0_15_0
GLOBAL_OFFSET_B vgprGlobalReadOffsetB+16, 65, 52, 4 // gROB_0_0_16_0
GLOBAL_OFFSET_B vgprGlobalReadOffsetB+17, 65, 53, 4 // gROB_0_0_17_0
GLOBAL_OFFSET_B vgprGlobalReadOffsetB+18, 65, 54, 4 // gROB_0_0_18_0
GLOBAL_OFFSET_B vgprGlobalReadOffsetB+19, 65, 55, 4 // gROB_0_0_19_0
GLOBAL_OFFSET_B vgprGlobalReadOffsetB+20, 65, 56, 4 // gROB_0_0_20_0
GLOBAL_OFFSET_B vgprGlobalReadOffsetB+21, 65, 57, 4 // gROB_0_0_21_0
GLOBAL_OFFSET_B vgprGlobalReadOffsetB+22, 65, 58, 4 // gROB_0_0_22_0
GLOBAL_OFFSET_B vgprGlobalReadOffsetB+23, 65, 59, 4 // gROB_0_0_23_0
GLOBAL_OFFSET_B vgprGlobalReadOffsetB+24, 65, 60, 4 // gROB_0_0_24_0
GLOBAL_OFFSET_B vgprGlobalReadOffsetB+25, 65, 61, 4 // gROB_0_0_25_0
GLOBAL_OFFSET_B vgprGlobalReadOffsetB+26, 65, 62, 4 // gROB_0_0_26_0
GLOBAL_OFFSET_B vgprGlobalReadOffsetB+27, 65, 63, 4 // gROB_0_0_27_0


/* global read addresses: addresses a */

/* max read offset = size[n] * stride[n-1] */
s_mul_hi_u32 s61, s[sgprWorkGroup0], 256           // WorkGroup[01] * MT
s_mul_i32 s60, s[sgprWorkGroup0], 256              // WorkGroup[01] * MT
s_mul_hi_u32 s61, s60, s[sgprStrideA0I]            // tlu=0, scaled tile-offset by stride
s_mul_i32 s60, s60, s[sgprStrideA0I]               // tlu=0, scaled tile-offset by stride
s_sub_u32 s[sgprShadowLimitA+0], s[sgprTensor2dSizeA], s60 // sub tileStart
s_subb_u32 s[sgprShadowLimitA+1], s[sgprTensor2dSizeA+1], s61 // sub tileStart
s_lshl_b64 s[sgprShadowLimitA:sgprShadowLimitA+1], s[sgprShadowLimitA:sgprShadowLimitA+1], 0x0 // Set limit to use bytes
s_add_u32 s[sgprShadowLimitA+0], s[sgprShadowLimitA+0], 4 // extend limit for pre-pad
s_addc_u32 s[sgprShadowLimitA+1], s[sgprShadowLimitA+1], 0 // extend limit for pre-pad
s_cmp_eq_u32 s[sgprShadowLimitA+1], 0              // are we within 2^32?
s_cselect_b32 s[sgprSrdA+2], s[sgprShadowLimitA+0], BufferLimitA // Move shadow to real if we are within 2^32
s_mul_hi_u32 s59, s[sgprStrideAK], s[sgprWorkGroup2] // Stride*WG
s_mul_i32 s58, s[sgprStrideAK], s[sgprWorkGroup2]  // Stride*WG
s_add_u32 s60, s60, s58                            // accum wg term to tilestart
s_addc_u32 s61, s61, s59                           // accum wg term to tilestart
                                                   // tileStart *= BPE (multiplier is 1, do nothing)
s_add_u32 s[sgprSrdA+0], s[sgprSrdA+0], s60        // SRD base = Address+ tileStart0
s_addc_u32 s[sgprSrdA+1], s[sgprSrdA+1], s61       // SRD base = Address+ tileStart1
s_mov_b32 s[sgprSrdA+3], Srd127_96                 // Set bits 127_96 in SRD


/* global read addresses: addresses b */

/* max read offset = size[n] * stride[n-1] */
s_mul_hi_u32 s61, s[sgprWorkGroup1], 224           // WorkGroup[01] * MT
s_mul_i32 s60, s[sgprWorkGroup1], 224              // WorkGroup[01] * MT
s_mul_hi_u32 s61, s60, s[sgprStrideB1J]            // tlu=0, scaled tile-offset by stride
s_mul_i32 s60, s60, s[sgprStrideB1J]               // tlu=0, scaled tile-offset by stride
s_sub_u32 s[sgprShadowLimitB+0], s[sgprTensor2dSizeB], s60 // sub tileStart
s_subb_u32 s[sgprShadowLimitB+1], s[sgprTensor2dSizeB+1], s61 // sub tileStart
s_lshl_b64 s[sgprShadowLimitB:sgprShadowLimitB+1], s[sgprShadowLimitB:sgprShadowLimitB+1], 0x0 // Set limit to use bytes
s_add_u32 s[sgprShadowLimitB+0], s[sgprShadowLimitB+0], 4 // extend limit for pre-pad
s_addc_u32 s[sgprShadowLimitB+1], s[sgprShadowLimitB+1], 0 // extend limit for pre-pad
s_cmp_eq_u32 s[sgprShadowLimitB+1], 0              // are we within 2^32?
s_cselect_b32 s[sgprSrdB+2], s[sgprShadowLimitB+0], BufferLimitB // Move shadow to real if we are within 2^32
s_mul_hi_u32 s59, s[sgprStrideBK], s[sgprWorkGroup2] // Stride*WG
s_mul_i32 s58, s[sgprStrideBK], s[sgprWorkGroup2]  // Stride*WG
s_add_u32 s60, s60, s58                            // accum wg term to tilestart
s_addc_u32 s61, s61, s59                           // accum wg term to tilestart
                                                   // tileStart *= BPE (multiplier is 1, do nothing)
s_add_u32 s[sgprSrdB+0], s[sgprSrdB+0], s60        // SRD base = Address+ tileStart0
s_addc_u32 s[sgprSrdB+1], s[sgprSrdB+1], s61       // SRD base = Address+ tileStart1
s_mov_b32 s[sgprSrdB+3], Srd127_96                 // Set bits 127_96 in SRD


/* global read addresses: increments a */

s_mov_b32 s[sgprGlobalReadIncsA+0], DepthU*BpeA    // incrA (unrollIdx)


/* global read addresses: increments b */

s_mov_b32 s[sgprGlobalReadIncsB+0], DepthU*BpeB    // incrB (unrollIdx)

/* declare loop num iterations */


s_lshr_b32 s[sgprLoopCounterL], s[sgprSizesSum+0], 7 // s[sgprLoopCounterL] = s[sgprSizesSum+0] / 128
s_mov_b32 s[sgprOrigLoopCounter], s[sgprLoopCounterL] // copy loop counter

s_and_b32 s[sgprStaggerUIter], s[sgprOrigStaggerUIter], s[sgprWorkGroup0] // Compute actual stagger start for this tile


/* SRDs += (StaggerUIter) * GlobalReadIncsA+0 */
s_mul_hi_u32 s59, s[sgprStaggerUIter], s[sgprGlobalReadIncsA+0] //  stagger byte offset
s_mul_i32 s58, s[sgprStaggerUIter], s[sgprGlobalReadIncsA+0] //  stagger byte offset
s_mul_hi_u32 s[sgprWrapUA+1], s[sgprLoopCounterL], s[sgprGlobalReadIncsA+0] // Number of bytes accessed by the unroll loop
s_mul_i32 s[sgprWrapUA+0], s[sgprLoopCounterL], s[sgprGlobalReadIncsA+0] // Number of bytes accessed by the unroll loop
s_sub_u32 s[sgprWrapUA+0], s[sgprGlobalReadIncsA+0], s[sgprWrapUA+0] // remove one iteration
s_subb_u32 s[sgprWrapUA+1], 0, s[sgprWrapUA+1]     // remove one iteration
s_add_u32 s[sgprSrdA+0], s[sgprSrdA+0], s58        // gra SRD += inc(lower)
s_addc_u32  s[sgprSrdA+1], s[sgprSrdA+1], s59      // gra SRD += inc(upper)
s_sub_u32 s[sgprShadowLimitA+0], s[sgprShadowLimitA+0], s58 // limit -= inc)
s_subb_u32 s[sgprShadowLimitA+1], s[sgprShadowLimitA+1], s59 // limit -= inc)
s_cmp_eq_u32 s[sgprShadowLimitA+1], 0              // are we within 2^32?
s_cselect_b32 s[sgprSrdA+2], s[sgprShadowLimitA+0], BufferLimitA // Move shadow to real if we are within 2^32


/* SRDs += (StaggerUIter) * GlobalReadIncsB+0 */
s_mul_hi_u32 s59, s[sgprStaggerUIter], s[sgprGlobalReadIncsB+0] //  stagger byte offset
s_mul_i32 s58, s[sgprStaggerUIter], s[sgprGlobalReadIncsB+0] //  stagger byte offset
s_mul_hi_u32 s[sgprWrapUB+1], s[sgprLoopCounterL], s[sgprGlobalReadIncsB+0] // Number of bytes accessed by the unroll loop
s_mul_i32 s[sgprWrapUB+0], s[sgprLoopCounterL], s[sgprGlobalReadIncsB+0] // Number of bytes accessed by the unroll loop
s_sub_u32 s[sgprWrapUB+0], s[sgprGlobalReadIncsB+0], s[sgprWrapUB+0] // remove one iteration
s_subb_u32 s[sgprWrapUB+1], 0, s[sgprWrapUB+1]     // remove one iteration
s_add_u32 s[sgprSrdB+0], s[sgprSrdB+0], s58        // gra SRD += inc(lower)
s_addc_u32  s[sgprSrdB+1], s[sgprSrdB+1], s59      // gra SRD += inc(upper)
s_sub_u32 s[sgprShadowLimitB+0], s[sgprShadowLimitB+0], s58 // limit -= inc)
s_subb_u32 s[sgprShadowLimitB+1], s[sgprShadowLimitB+1], s59 // limit -= inc)
s_cmp_eq_u32 s[sgprShadowLimitB+1], 0              // are we within 2^32?
s_cselect_b32 s[sgprSrdB+2], s[sgprShadowLimitB+0], BufferLimitB // Move shadow to real if we are within 2^32
s_add_u32 s[sgprStaggerUIter], s[sgprStaggerUIter], 2 // Subtract (PGR-1); StaggerUIter now contains target iteration to wrap

/* local read addresses: init pointers a */


/* localReadInitPointers */

/* local read addresses: init pointers b */


/* localReadInitPointers */


/* prefetch: global -> local */

s_cmp_eq_u32 s[sgprLoopCounterL], 0                // at last iteration?
s_setprio 0                                        // optimization store
s_cbranch_scc1 ShadowInitStart_10                  // skip to ShadowInitStart iter b/c numIter==0


_buffer_load_b32 v[vgprG2LA+0], v[vgprGlobalReadOffsetA+0], s[sgprSrdA:sgprSrdA+3], 0, offen offset:0 // G -> Reg 0_0_0_0
_buffer_load_b32 v[vgprG2LA+1], v[vgprGlobalReadOffsetA+1], s[sgprSrdA:sgprSrdA+3], 0, offen offset:0 // G -> Reg 0_0_1_0
_buffer_load_b32 v[vgprG2LA+2], v[vgprGlobalReadOffsetA+2], s[sgprSrdA:sgprSrdA+3], 0, offen offset:0 // G -> Reg 0_0_2_0
_buffer_load_b32 v[vgprG2LA+3], v[vgprGlobalReadOffsetA+3], s[sgprSrdA:sgprSrdA+3], 0, offen offset:0 // G -> Reg 0_0_3_0
_buffer_load_b32 v[vgprG2LA+4], v[vgprGlobalReadOffsetA+4], s[sgprSrdA:sgprSrdA+3], 0, offen offset:0 // G -> Reg 0_0_4_0
_buffer_load_b32 v[vgprG2LA+5], v[vgprGlobalReadOffsetA+5], s[sgprSrdA:sgprSrdA+3], 0, offen offset:0 // G -> Reg 0_0_5_0
_buffer_load_b32 v[vgprG2LA+6], v[vgprGlobalReadOffsetA+6], s[sgprSrdA:sgprSrdA+3], 0, offen offset:0 // G -> Reg 0_0_6_0
_buffer_load_b32 v[vgprG2LA+7], v[vgprGlobalReadOffsetA+7], s[sgprSrdA:sgprSrdA+3], 0, offen offset:0 // G -> Reg 0_0_7_0
_buffer_load_b32 v[vgprG2LA+8], v[vgprGlobalReadOffsetA+8], s[sgprSrdA:sgprSrdA+3], 0, offen offset:0 // G -> Reg 0_0_8_0
_buffer_load_b32 v[vgprG2LA+9], v[vgprGlobalReadOffsetA+9], s[sgprSrdA:sgprSrdA+3], 0, offen offset:0 // G -> Reg 0_0_9_0
_buffer_load_b32 v[vgprG2LA+10], v[vgprGlobalReadOffsetA+10], s[sgprSrdA:sgprSrdA+3], 0, offen offset:0 // G -> Reg 0_0_10_0
_buffer_load_b32 v[vgprG2LA+11], v[vgprGlobalReadOffsetA+11], s[sgprSrdA:sgprSrdA+3], 0, offen offset:0 // G -> Reg 0_0_11_0
_buffer_load_b32 v[vgprG2LA+12], v[vgprGlobalReadOffsetA+12], s[sgprSrdA:sgprSrdA+3], 0, offen offset:0 // G -> Reg 0_0_12_0
_buffer_load_b32 v[vgprG2LA+13], v[vgprGlobalReadOffsetA+13], s[sgprSrdA:sgprSrdA+3], 0, offen offset:0 // G -> Reg 0_0_13_0
_buffer_load_b32 v[vgprG2LA+14], v[vgprGlobalReadOffsetA+14], s[sgprSrdA:sgprSrdA+3], 0, offen offset:0 // G -> Reg 0_0_14_0
_buffer_load_b32 v[vgprG2LA+15], v[vgprGlobalReadOffsetA+15], s[sgprSrdA:sgprSrdA+3], 0, offen offset:0 // G -> Reg 0_0_15_0
_buffer_load_b32 v[vgprG2LA+16], v[vgprGlobalReadOffsetA+16], s[sgprSrdA:sgprSrdA+3], 0, offen offset:0 // G -> Reg 0_0_16_0
_buffer_load_b32 v[vgprG2LA+17], v[vgprGlobalReadOffsetA+17], s[sgprSrdA:sgprSrdA+3], 0, offen offset:0 // G -> Reg 0_0_17_0
_buffer_load_b32 v[vgprG2LA+18], v[vgprGlobalReadOffsetA+18], s[sgprSrdA:sgprSrdA+3], 0, offen offset:0 // G -> Reg 0_0_18_0
_buffer_load_b32 v[vgprG2LA+19], v[vgprGlobalReadOffsetA+19], s[sgprSrdA:sgprSrdA+3], 0, offen offset:0 // G -> Reg 0_0_19_0
_buffer_load_b32 v[vgprG2LA+20], v[vgprGlobalReadOffsetA+20], s[sgprSrdA:sgprSrdA+3], 0, offen offset:0 // G -> Reg 0_0_20_0
_buffer_load_b32 v[vgprG2LA+21], v[vgprGlobalReadOffsetA+21], s[sgprSrdA:sgprSrdA+3], 0, offen offset:0 // G -> Reg 0_0_21_0
_buffer_load_b32 v[vgprG2LA+22], v[vgprGlobalReadOffsetA+22], s[sgprSrdA:sgprSrdA+3], 0, offen offset:0 // G -> Reg 0_0_22_0
_buffer_load_b32 v[vgprG2LA+23], v[vgprGlobalReadOffsetA+23], s[sgprSrdA:sgprSrdA+3], 0, offen offset:0 // G -> Reg 0_0_23_0
_buffer_load_b32 v[vgprG2LA+24], v[vgprGlobalReadOffsetA+24], s[sgprSrdA:sgprSrdA+3], 0, offen offset:0 // G -> Reg 0_0_24_0
_buffer_load_b32 v[vgprG2LA+25], v[vgprGlobalReadOffsetA+25], s[sgprSrdA:sgprSrdA+3], 0, offen offset:0 // G -> Reg 0_0_25_0
_buffer_load_b32 v[vgprG2LA+26], v[vgprGlobalReadOffsetA+26], s[sgprSrdA:sgprSrdA+3], 0, offen offset:0 // G -> Reg 0_0_26_0
_buffer_load_b32 v[vgprG2LA+27], v[vgprGlobalReadOffsetA+27], s[sgprSrdA:sgprSrdA+3], 0, offen offset:0 // G -> Reg 0_0_27_0
_buffer_load_b32 v[vgprG2LA+28], v[vgprGlobalReadOffsetA+28], s[sgprSrdA:sgprSrdA+3], 0, offen offset:0 // G -> Reg 0_0_28_0
_buffer_load_b32 v[vgprG2LA+29], v[vgprGlobalReadOffsetA+29], s[sgprSrdA:sgprSrdA+3], 0, offen offset:0 // G -> Reg 0_0_29_0
_buffer_load_b32 v[vgprG2LA+30], v[vgprGlobalReadOffsetA+30], s[sgprSrdA:sgprSrdA+3], 0, offen offset:0 // G -> Reg 0_0_30_0
_buffer_load_b32 v[vgprG2LA+31], v[vgprGlobalReadOffsetA+31], s[sgprSrdA:sgprSrdA+3], 0, offen offset:0 // G -> Reg 0_0_31_0


_buffer_load_b32 v[vgprG2LB+0], v[vgprGlobalReadOffsetB+0], s[sgprSrdB:sgprSrdB+3], 0, offen offset:0 // G -> Reg 0_0_0_0
_buffer_load_b32 v[vgprG2LB+1], v[vgprGlobalReadOffsetB+1], s[sgprSrdB:sgprSrdB+3], 0, offen offset:0 // G -> Reg 0_0_1_0
_buffer_load_b32 v[vgprG2LB+2], v[vgprGlobalReadOffsetB+2], s[sgprSrdB:sgprSrdB+3], 0, offen offset:0 // G -> Reg 0_0_2_0
_buffer_load_b32 v[vgprG2LB+3], v[vgprGlobalReadOffsetB+3], s[sgprSrdB:sgprSrdB+3], 0, offen offset:0 // G -> Reg 0_0_3_0
_buffer_load_b32 v[vgprG2LB+4], v[vgprGlobalReadOffsetB+4], s[sgprSrdB:sgprSrdB+3], 0, offen offset:0 // G -> Reg 0_0_4_0
_buffer_load_b32 v[vgprG2LB+5], v[vgprGlobalReadOffsetB+5], s[sgprSrdB:sgprSrdB+3], 0, offen offset:0 // G -> Reg 0_0_5_0
_buffer_load_b32 v[vgprG2LB+6], v[vgprGlobalReadOffsetB+6], s[sgprSrdB:sgprSrdB+3], 0, offen offset:0 // G -> Reg 0_0_6_0
_buffer_load_b32 v[vgprG2LB+7], v[vgprGlobalReadOffsetB+7], s[sgprSrdB:sgprSrdB+3], 0, offen offset:0 // G -> Reg 0_0_7_0
_buffer_load_b32 v[vgprG2LB+8], v[vgprGlobalReadOffsetB+8], s[sgprSrdB:sgprSrdB+3], 0, offen offset:0 // G -> Reg 0_0_8_0
_buffer_load_b32 v[vgprG2LB+9], v[vgprGlobalReadOffsetB+9], s[sgprSrdB:sgprSrdB+3], 0, offen offset:0 // G -> Reg 0_0_9_0
_buffer_load_b32 v[vgprG2LB+10], v[vgprGlobalReadOffsetB+10], s[sgprSrdB:sgprSrdB+3], 0, offen offset:0 // G -> Reg 0_0_10_0
_buffer_load_b32 v[vgprG2LB+11], v[vgprGlobalReadOffsetB+11], s[sgprSrdB:sgprSrdB+3], 0, offen offset:0 // G -> Reg 0_0_11_0
_buffer_load_b32 v[vgprG2LB+12], v[vgprGlobalReadOffsetB+12], s[sgprSrdB:sgprSrdB+3], 0, offen offset:0 // G -> Reg 0_0_12_0
_buffer_load_b32 v[vgprG2LB+13], v[vgprGlobalReadOffsetB+13], s[sgprSrdB:sgprSrdB+3], 0, offen offset:0 // G -> Reg 0_0_13_0
_buffer_load_b32 v[vgprG2LB+14], v[vgprGlobalReadOffsetB+14], s[sgprSrdB:sgprSrdB+3], 0, offen offset:0 // G -> Reg 0_0_14_0
_buffer_load_b32 v[vgprG2LB+15], v[vgprGlobalReadOffsetB+15], s[sgprSrdB:sgprSrdB+3], 0, offen offset:0 // G -> Reg 0_0_15_0
_buffer_load_b32 v[vgprG2LB+16], v[vgprGlobalReadOffsetB+16], s[sgprSrdB:sgprSrdB+3], 0, offen offset:0 // G -> Reg 0_0_16_0
_buffer_load_b32 v[vgprG2LB+17], v[vgprGlobalReadOffsetB+17], s[sgprSrdB:sgprSrdB+3], 0, offen offset:0 // G -> Reg 0_0_17_0
_buffer_load_b32 v[vgprG2LB+18], v[vgprGlobalReadOffsetB+18], s[sgprSrdB:sgprSrdB+3], 0, offen offset:0 // G -> Reg 0_0_18_0
_buffer_load_b32 v[vgprG2LB+19], v[vgprGlobalReadOffsetB+19], s[sgprSrdB:sgprSrdB+3], 0, offen offset:0 // G -> Reg 0_0_19_0
_buffer_load_b32 v[vgprG2LB+20], v[vgprGlobalReadOffsetB+20], s[sgprSrdB:sgprSrdB+3], 0, offen offset:0 // G -> Reg 0_0_20_0
_buffer_load_b32 v[vgprG2LB+21], v[vgprGlobalReadOffsetB+21], s[sgprSrdB:sgprSrdB+3], 0, offen offset:0 // G -> Reg 0_0_21_0
_buffer_load_b32 v[vgprG2LB+22], v[vgprGlobalReadOffsetB+22], s[sgprSrdB:sgprSrdB+3], 0, offen offset:0 // G -> Reg 0_0_22_0
_buffer_load_b32 v[vgprG2LB+23], v[vgprGlobalReadOffsetB+23], s[sgprSrdB:sgprSrdB+3], 0, offen offset:0 // G -> Reg 0_0_23_0
_buffer_load_b32 v[vgprG2LB+24], v[vgprGlobalReadOffsetB+24], s[sgprSrdB:sgprSrdB+3], 0, offen offset:0 // G -> Reg 0_0_24_0
_buffer_load_b32 v[vgprG2LB+25], v[vgprGlobalReadOffsetB+25], s[sgprSrdB:sgprSrdB+3], 0, offen offset:0 // G -> Reg 0_0_25_0
_buffer_load_b32 v[vgprG2LB+26], v[vgprGlobalReadOffsetB+26], s[sgprSrdB:sgprSrdB+3], 0, offen offset:0 // G -> Reg 0_0_26_0
_buffer_load_b32 v[vgprG2LB+27], v[vgprGlobalReadOffsetB+27], s[sgprSrdB:sgprSrdB+3], 0, offen offset:0 // G -> Reg 0_0_27_0


/* global read inc A loopL */
s_add_u32 s60, s[sgprLoopCounterL], 1              // remove pf(1)
s_cmp_eq_u32 s[sgprStaggerUIter], s60              // Is this wrapIter? (pf)
s_cselect_b32 s58, s[sgprWrapUA+0], s[sgprGlobalReadIncsA+0] // incLower <- ?
s_cselect_b32 s59, s[sgprWrapUA+1], 0              // incUpper <- ?
s_add_u32 s[sgprSrdA+0], s[sgprSrdA+0], s58        // gra SRD += inc(lower)
s_addc_u32  s[sgprSrdA+1], s[sgprSrdA+1], s59      // gra SRD += inc(upper)
s_sub_u32 s[sgprShadowLimitA+0], s[sgprShadowLimitA+0], s58 // limit -= inc)
s_subb_u32 s[sgprShadowLimitA+1], s[sgprShadowLimitA+1], s59 // limit -= inc)
s_cmp_eq_u32 s[sgprShadowLimitA+1], 0              // are we within 2^32?
s_cselect_b32 s[sgprSrdA+2], s[sgprShadowLimitA+0], BufferLimitA // Move shadow to real if we are within 2^32

/* global read inc B loopL */
s_add_u32 s60, s[sgprLoopCounterL], 1              // remove pf(1)
s_cmp_eq_u32 s[sgprStaggerUIter], s60              // Is this wrapIter? (pf)
s_cselect_b32 s58, s[sgprWrapUB+0], s[sgprGlobalReadIncsB+0] // incLower <- ?
s_cselect_b32 s59, s[sgprWrapUB+1], 0              // incUpper <- ?
s_add_u32 s[sgprSrdB+0], s[sgprSrdB+0], s58        // gra SRD += inc(lower)
s_addc_u32  s[sgprSrdB+1], s[sgprSrdB+1], s59      // gra SRD += inc(upper)
s_sub_u32 s[sgprShadowLimitB+0], s[sgprShadowLimitB+0], s58 // limit -= inc)
s_subb_u32 s[sgprShadowLimitB+1], s[sgprShadowLimitB+1], s59 // limit -= inc)
s_cmp_eq_u32 s[sgprShadowLimitB+1], 0              // are we within 2^32?
s_cselect_b32 s[sgprSrdB+2], s[sgprShadowLimitB+0], BufferLimitB // Move shadow to real if we are within 2^32


/******************************************/
/* End setupNewTile, isPap=False             */
/******************************************/

ShadowInitStart_10: // 

s_mov_b32 s[sgprSrdD+2], BufferOOB                 // 
s_mov_b32 s[sgprSrdD+3], Srd127_96                 // Set bits 127_96 in post-loop SRD

s_mov_b32 s[sgprSrdC+2], BufferOOB                 // 
s_mov_b32 s[sgprSrdC+3], Srd127_96                 // Set bits 127_96 in post-loop SRD


s_mul_i32 s58, MT1, s[sgprWorkGroup1]              // <- wg1*MT1
s_mul_hi_u32 s57, s58, s[sgprStrideC1J]            // CScale s58 by Stride
s_mul_i32 s56, s58, s[sgprStrideC1J]               // CScale s58 by Stride
s_lshl_b64 s[56:57], s[56:57], 0                   // scale by bpe
s_add_u32 s[sgprSrdC+0], s[sgprSrdC+0], s56        // add lo to SRD
s_addc_u32 s[sgprSrdC+1], s[sgprSrdC+1], s57       // add hi to SRD
s_mul_hi_u32 s57, s58, s[sgprStrideD1J]            // Scale s58 by Stride
s_mul_i32 s56, s58, s[sgprStrideD1J]               // Scale s58 by Stride
s_lshl_b64 s[56:57], s[56:57], 0                   // scale by bpe
s_add_u32 s[sgprSrdD+0], s[sgprSrdD+0], s56        // add lo to SRD
s_addc_u32 s[sgprSrdD+1], s[sgprSrdD+1], s57       // add hi to SRD

s_mul_hi_u32 s57, s[sgprWorkGroup2], s[sgprStrideCK] // CScale s[sgprWorkGroup2] by Stride
s_mul_i32 s56, s[sgprWorkGroup2], s[sgprStrideCK]  // CScale s[sgprWorkGroup2] by Stride
s_lshl_b64 s[56:57], s[56:57], 0                   // scale by bpe
s_add_u32 s[sgprSrdC+0], s[sgprSrdC+0], s56        // add lo to SRD
s_addc_u32 s[sgprSrdC+1], s[sgprSrdC+1], s57       // add hi to SRD
s_mul_hi_u32 s57, s[sgprWorkGroup2], s[sgprStrideDK] // Scale s[sgprWorkGroup2] by Stride
s_mul_i32 s56, s[sgprWorkGroup2], s[sgprStrideDK]  // Scale s[sgprWorkGroup2] by Stride
s_lshl_b64 s[56:57], s[56:57], 0                   // scale by bpe
s_add_u32 s[sgprSrdD+0], s[sgprSrdD+0], s56        // add lo to SRD
s_addc_u32 s[sgprSrdD+1], s[sgprSrdD+1], s57       // add hi to SRD


	;; [unrolled: 1-line block ×3, first 2 shown]
/* initC: remove C-tile 0-0 from pool */

/* initC: remove AB-tile 0-120 from pool */
v_accvgpr_write acc0, 0x0                          // initC
v_accvgpr_write acc1, 0x0                          // initC
v_accvgpr_write acc2, 0x0                          // initC
v_accvgpr_write acc3, 0x0                          // initC
v_accvgpr_write acc4, 0x0                          // initC
v_accvgpr_write acc5, 0x0                          // initC
v_accvgpr_write acc6, 0x0                          // initC
v_accvgpr_write acc7, 0x0                          // initC
v_accvgpr_write acc8, 0x0                          // initC
v_accvgpr_write acc9, 0x0                          // initC
v_accvgpr_write acc10, 0x0                         // initC
v_accvgpr_write acc11, 0x0                         // initC
v_accvgpr_write acc12, 0x0                         // initC
v_accvgpr_write acc13, 0x0                         // initC
v_accvgpr_write acc14, 0x0                         // initC
v_accvgpr_write acc15, 0x0                         // initC
v_accvgpr_write acc16, 0x0                         // initC
v_accvgpr_write acc17, 0x0                         // initC
v_accvgpr_write acc18, 0x0                         // initC
v_accvgpr_write acc19, 0x0                         // initC
v_accvgpr_write acc20, 0x0                         // initC
v_accvgpr_write acc21, 0x0                         // initC
v_accvgpr_write acc22, 0x0                         // initC
v_accvgpr_write acc23, 0x0                         // initC
v_accvgpr_write acc24, 0x0                         // initC
v_accvgpr_write acc25, 0x0                         // initC
v_accvgpr_write acc26, 0x0                         // initC
v_accvgpr_write acc27, 0x0                         // initC
v_accvgpr_write acc28, 0x0                         // initC
v_accvgpr_write acc29, 0x0                         // initC
v_accvgpr_write acc30, 0x0                         // initC
v_accvgpr_write acc31, 0x0                         // initC
v_accvgpr_write acc32, 0x0                         // initC
v_accvgpr_write acc33, 0x0                         // initC
v_accvgpr_write acc34, 0x0                         // initC
v_accvgpr_write acc35, 0x0                         // initC
v_accvgpr_write acc36, 0x0                         // initC
v_accvgpr_write acc37, 0x0                         // initC
v_accvgpr_write acc38, 0x0                         // initC
v_accvgpr_write acc39, 0x0                         // initC
v_accvgpr_write acc40, 0x0                         // initC
v_accvgpr_write acc41, 0x0                         // initC
v_accvgpr_write acc42, 0x0                         // initC
v_accvgpr_write acc43, 0x0                         // initC
v_accvgpr_write acc44, 0x0                         // initC
v_accvgpr_write acc45, 0x0                         // initC
v_accvgpr_write acc46, 0x0                         // initC
v_accvgpr_write acc47, 0x0                         // initC
v_accvgpr_write acc48, 0x0                         // initC
v_accvgpr_write acc49, 0x0                         // initC
v_accvgpr_write acc50, 0x0                         // initC
v_accvgpr_write acc51, 0x0                         // initC
v_accvgpr_write acc52, 0x0                         // initC
v_accvgpr_write acc53, 0x0                         // initC
v_accvgpr_write acc54, 0x0                         // initC
v_accvgpr_write acc55, 0x0                         // initC
v_accvgpr_write acc56, 0x0                         // initC
v_accvgpr_write acc57, 0x0                         // initC
v_accvgpr_write acc58, 0x0                         // initC
v_accvgpr_write acc59, 0x0                         // initC
v_accvgpr_write acc60, 0x0                         // initC
v_accvgpr_write acc61, 0x0                         // initC
v_accvgpr_write acc62, 0x0                         // initC
v_accvgpr_write acc63, 0x0                         // initC
v_accvgpr_write acc64, 0x0                         // initC
v_accvgpr_write acc65, 0x0                         // initC
v_accvgpr_write acc66, 0x0                         // initC
v_accvgpr_write acc67, 0x0                         // initC
v_accvgpr_write acc68, 0x0                         // initC
v_accvgpr_write acc69, 0x0                         // initC
v_accvgpr_write acc70, 0x0                         // initC
v_accvgpr_write acc71, 0x0                         // initC
v_accvgpr_write acc72, 0x0                         // initC
v_accvgpr_write acc73, 0x0                         // initC
v_accvgpr_write acc74, 0x0                         // initC
v_accvgpr_write acc75, 0x0                         // initC
v_accvgpr_write acc76, 0x0                         // initC
v_accvgpr_write acc77, 0x0                         // initC
v_accvgpr_write acc78, 0x0                         // initC
v_accvgpr_write acc79, 0x0                         // initC
v_accvgpr_write acc80, 0x0                         // initC
v_accvgpr_write acc81, 0x0                         // initC
v_accvgpr_write acc82, 0x0                         // initC
v_accvgpr_write acc83, 0x0                         // initC
v_accvgpr_write acc84, 0x0                         // initC
v_accvgpr_write acc85, 0x0                         // initC
v_accvgpr_write acc86, 0x0                         // initC
v_accvgpr_write acc87, 0x0                         // initC
v_accvgpr_write acc88, 0x0                         // initC
v_accvgpr_write acc89, 0x0                         // initC
v_accvgpr_write acc90, 0x0                         // initC
v_accvgpr_write acc91, 0x0                         // initC
v_accvgpr_write acc92, 0x0                         // initC
v_accvgpr_write acc93, 0x0                         // initC
v_accvgpr_write acc94, 0x0                         // initC
v_accvgpr_write acc95, 0x0                         // initC
v_accvgpr_write acc96, 0x0                         // initC
v_accvgpr_write acc97, 0x0                         // initC
v_accvgpr_write acc98, 0x0                         // initC
v_accvgpr_write acc99, 0x0                         // initC
v_accvgpr_write acc100, 0x0                        // initC
v_accvgpr_write acc101, 0x0                        // initC
v_accvgpr_write acc102, 0x0                        // initC
v_accvgpr_write acc103, 0x0                        // initC
v_accvgpr_write acc104, 0x0                        // initC
v_accvgpr_write acc105, 0x0                        // initC
v_accvgpr_write acc106, 0x0                        // initC
v_accvgpr_write acc107, 0x0                        // initC
v_accvgpr_write acc108, 0x0                        // initC
v_accvgpr_write acc109, 0x0                        // initC
v_accvgpr_write acc110, 0x0                        // initC
v_accvgpr_write acc111, 0x0                        // initC
v_accvgpr_write acc112, 0x0                        // initC
v_accvgpr_write acc113, 0x0                        // initC
v_accvgpr_write acc114, 0x0                        // initC
v_accvgpr_write acc115, 0x0                        // initC
v_accvgpr_write acc116, 0x0                        // initC
v_accvgpr_write acc117, 0x0                        // initC
v_accvgpr_write acc118, 0x0                        // initC
v_accvgpr_write acc119, 0x0                        // initC
v_accvgpr_write acc120, 0x0                        // initC
v_accvgpr_write acc121, 0x0                        // initC
v_accvgpr_write acc122, 0x0                        // initC
v_accvgpr_write acc123, 0x0                        // initC
v_accvgpr_write acc124, 0x0                        // initC
v_accvgpr_write acc125, 0x0                        // initC
v_accvgpr_write acc126, 0x0                        // initC
v_accvgpr_write acc127, 0x0                        // initC
v_accvgpr_write acc128, 0x0                        // initC
v_accvgpr_write acc129, 0x0                        // initC
v_accvgpr_write acc130, 0x0                        // initC
v_accvgpr_write acc131, 0x0                        // initC
v_accvgpr_write acc132, 0x0                        // initC
v_accvgpr_write acc133, 0x0                        // initC
v_accvgpr_write acc134, 0x0                        // initC
v_accvgpr_write acc135, 0x0                        // initC
v_accvgpr_write acc136, 0x0                        // initC
v_accvgpr_write acc137, 0x0                        // initC
v_accvgpr_write acc138, 0x0                        // initC
v_accvgpr_write acc139, 0x0                        // initC
v_accvgpr_write acc140, 0x0                        // initC
v_accvgpr_write acc141, 0x0                        // initC
v_accvgpr_write acc142, 0x0                        // initC
v_accvgpr_write acc143, 0x0                        // initC
v_accvgpr_write acc144, 0x0                        // initC
v_accvgpr_write acc145, 0x0                        // initC
v_accvgpr_write acc146, 0x0                        // initC
v_accvgpr_write acc147, 0x0                        // initC
v_accvgpr_write acc148, 0x0                        // initC
v_accvgpr_write acc149, 0x0                        // initC
v_accvgpr_write acc150, 0x0                        // initC
v_accvgpr_write acc151, 0x0                        // initC
v_accvgpr_write acc152, 0x0                        // initC
v_accvgpr_write acc153, 0x0                        // initC
v_accvgpr_write acc154, 0x0                        // initC
v_accvgpr_write acc155, 0x0                        // initC
v_accvgpr_write acc156, 0x0                        // initC
v_accvgpr_write acc157, 0x0                        // initC
v_accvgpr_write acc158, 0x0                        // initC
v_accvgpr_write acc159, 0x0                        // initC
v_accvgpr_write acc160, 0x0                        // initC
v_accvgpr_write acc161, 0x0                        // initC
v_accvgpr_write acc162, 0x0                        // initC
v_accvgpr_write acc163, 0x0                        // initC
v_accvgpr_write acc164, 0x0                        // initC
v_accvgpr_write acc165, 0x0                        // initC
v_accvgpr_write acc166, 0x0                        // initC
v_accvgpr_write acc167, 0x0                        // initC
v_accvgpr_write acc168, 0x0                        // initC
v_accvgpr_write acc169, 0x0                        // initC
v_accvgpr_write acc170, 0x0                        // initC
v_accvgpr_write acc171, 0x0                        // initC
v_accvgpr_write acc172, 0x0                        // initC
v_accvgpr_write acc173, 0x0                        // initC
v_accvgpr_write acc174, 0x0                        // initC
v_accvgpr_write acc175, 0x0                        // initC
v_accvgpr_write acc176, 0x0                        // initC
v_accvgpr_write acc177, 0x0                        // initC
v_accvgpr_write acc178, 0x0                        // initC
v_accvgpr_write acc179, 0x0                        // initC
v_accvgpr_write acc180, 0x0                        // initC
v_accvgpr_write acc181, 0x0                        // initC
v_accvgpr_write acc182, 0x0                        // initC
v_accvgpr_write acc183, 0x0                        // initC
v_accvgpr_write acc184, 0x0                        // initC
v_accvgpr_write acc185, 0x0                        // initC
v_accvgpr_write acc186, 0x0                        // initC
v_accvgpr_write acc187, 0x0                        // initC
v_accvgpr_write acc188, 0x0                        // initC
v_accvgpr_write acc189, 0x0                        // initC
v_accvgpr_write acc190, 0x0                        // initC
v_accvgpr_write acc191, 0x0                        // initC
v_accvgpr_write acc192, 0x0                        // initC
v_accvgpr_write acc193, 0x0                        // initC
v_accvgpr_write acc194, 0x0                        // initC
v_accvgpr_write acc195, 0x0                        // initC
v_accvgpr_write acc196, 0x0                        // initC
v_accvgpr_write acc197, 0x0                        // initC
v_accvgpr_write acc198, 0x0                        // initC
v_accvgpr_write acc199, 0x0                        // initC
v_accvgpr_write acc200, 0x0                        // initC
v_accvgpr_write acc201, 0x0                        // initC
v_accvgpr_write acc202, 0x0                        // initC
v_accvgpr_write acc203, 0x0                        // initC
v_accvgpr_write acc204, 0x0                        // initC
v_accvgpr_write acc205, 0x0                        // initC
v_accvgpr_write acc206, 0x0                        // initC
v_accvgpr_write acc207, 0x0                        // initC
v_accvgpr_write acc208, 0x0                        // initC
v_accvgpr_write acc209, 0x0                        // initC
v_accvgpr_write acc210, 0x0                        // initC
v_accvgpr_write acc211, 0x0                        // initC
v_accvgpr_write acc212, 0x0                        // initC
v_accvgpr_write acc213, 0x0                        // initC
v_accvgpr_write acc214, 0x0                        // initC
v_accvgpr_write acc215, 0x0                        // initC
v_accvgpr_write acc216, 0x0                        // initC
v_accvgpr_write acc217, 0x0                        // initC
v_accvgpr_write acc218, 0x0                        // initC
v_accvgpr_write acc219, 0x0                        // initC
v_accvgpr_write acc220, 0x0                        // initC
v_accvgpr_write acc221, 0x0                        // initC
v_accvgpr_write acc222, 0x0                        // initC
v_accvgpr_write acc223, 0x0                        // initC

s_cmp_eq_u32 s[sgprLoopCounterL], 0                // at last iteration?

/* after InitC, skip to end of prefetch last iter if numIter==0 */
s_cbranch_scc0 label_NoBranch_11                   // Only branch on scc1
s_getpc_B64 s[56:57]                               // addr of next instr
s_add_i32 s58, PrefetchGlobalLastIterEnd_5, 0x4    // target branch offset
s_add_u32 s56, s56, s58                            // add target branch offset
s_addc_u32 s57, s57, 0                             // add high and carry
s_setpc_b64 s[56:57]                               // branch to PrefetchGlobalLastIterEnd_5
label_NoBranch_11:

s_waitcnt vmcnt(0)                                 // lgkmcnt=-1 vmcnt=0 8wait for global read


/* local write a */
_ds_store_b32 v[vgprLocalWriteAddrA], v[vgprG2LA+0] offset:0 // lwoA_0_0_0_0 = (0*LSCA)*(MT0I+PAD) + (0*LSPA) = 0
_ds_store_b32 v[vgprLocalWriteAddrA], v[vgprG2LA+1] offset:1032 // lwoA_0_0_1_0 = (0*LSCA)*(MT0I+PAD) + (1*LSPA) = 1032
_ds_store_b32 v[vgprLocalWriteAddrA], v[vgprG2LA+2] offset:2064 // lwoA_0_0_2_0 = (0*LSCA)*(MT0I+PAD) + (2*LSPA) = 2064
_ds_store_b32 v[vgprLocalWriteAddrA], v[vgprG2LA+3] offset:3096 // lwoA_0_0_3_0 = (0*LSCA)*(MT0I+PAD) + (3*LSPA) = 3096
_ds_store_b32 v[vgprLocalWriteAddrA], v[vgprG2LA+4] offset:4128 // lwoA_0_0_4_0 = (0*LSCA)*(MT0I+PAD) + (4*LSPA) = 4128
_ds_store_b32 v[vgprLocalWriteAddrA], v[vgprG2LA+5] offset:5160 // lwoA_0_0_5_0 = (0*LSCA)*(MT0I+PAD) + (5*LSPA) = 5160
_ds_store_b32 v[vgprLocalWriteAddrA], v[vgprG2LA+6] offset:6192 // lwoA_0_0_6_0 = (0*LSCA)*(MT0I+PAD) + (6*LSPA) = 6192
_ds_store_b32 v[vgprLocalWriteAddrA], v[vgprG2LA+7] offset:7224 // lwoA_0_0_7_0 = (0*LSCA)*(MT0I+PAD) + (7*LSPA) = 7224
_ds_store_b32 v[vgprLocalWriteAddrA], v[vgprG2LA+8] offset:8256 // lwoA_0_0_8_0 = (0*LSCA)*(MT0I+PAD) + (8*LSPA) = 8256
_ds_store_b32 v[vgprLocalWriteAddrA], v[vgprG2LA+9] offset:9288 // lwoA_0_0_9_0 = (0*LSCA)*(MT0I+PAD) + (9*LSPA) = 9288
_ds_store_b32 v[vgprLocalWriteAddrA], v[vgprG2LA+10] offset:10320 // lwoA_0_0_10_0 = (0*LSCA)*(MT0I+PAD) + (10*LSPA) = 10320
_ds_store_b32 v[vgprLocalWriteAddrA], v[vgprG2LA+11] offset:11352 // lwoA_0_0_11_0 = (0*LSCA)*(MT0I+PAD) + (11*LSPA) = 11352
_ds_store_b32 v[vgprLocalWriteAddrA], v[vgprG2LA+12] offset:12384 // lwoA_0_0_12_0 = (0*LSCA)*(MT0I+PAD) + (12*LSPA) = 12384
_ds_store_b32 v[vgprLocalWriteAddrA], v[vgprG2LA+13] offset:13416 // lwoA_0_0_13_0 = (0*LSCA)*(MT0I+PAD) + (13*LSPA) = 13416
_ds_store_b32 v[vgprLocalWriteAddrA], v[vgprG2LA+14] offset:14448 // lwoA_0_0_14_0 = (0*LSCA)*(MT0I+PAD) + (14*LSPA) = 14448
_ds_store_b32 v[vgprLocalWriteAddrA], v[vgprG2LA+15] offset:15480 // lwoA_0_0_15_0 = (0*LSCA)*(MT0I+PAD) + (15*LSPA) = 15480
_ds_store_b32 v[vgprLocalWriteAddrA], v[vgprG2LA+16] offset:16512 // lwoA_0_0_16_0 = (0*LSCA)*(MT0I+PAD) + (16*LSPA) = 16512
_ds_store_b32 v[vgprLocalWriteAddrA], v[vgprG2LA+17] offset:17544 // lwoA_0_0_17_0 = (0*LSCA)*(MT0I+PAD) + (17*LSPA) = 17544
_ds_store_b32 v[vgprLocalWriteAddrA], v[vgprG2LA+18] offset:18576 // lwoA_0_0_18_0 = (0*LSCA)*(MT0I+PAD) + (18*LSPA) = 18576
_ds_store_b32 v[vgprLocalWriteAddrA], v[vgprG2LA+19] offset:19608 // lwoA_0_0_19_0 = (0*LSCA)*(MT0I+PAD) + (19*LSPA) = 19608
_ds_store_b32 v[vgprLocalWriteAddrA], v[vgprG2LA+20] offset:20640 // lwoA_0_0_20_0 = (0*LSCA)*(MT0I+PAD) + (20*LSPA) = 20640
_ds_store_b32 v[vgprLocalWriteAddrA], v[vgprG2LA+21] offset:21672 // lwoA_0_0_21_0 = (0*LSCA)*(MT0I+PAD) + (21*LSPA) = 21672
_ds_store_b32 v[vgprLocalWriteAddrA], v[vgprG2LA+22] offset:22704 // lwoA_0_0_22_0 = (0*LSCA)*(MT0I+PAD) + (22*LSPA) = 22704
_ds_store_b32 v[vgprLocalWriteAddrA], v[vgprG2LA+23] offset:23736 // lwoA_0_0_23_0 = (0*LSCA)*(MT0I+PAD) + (23*LSPA) = 23736
_ds_store_b32 v[vgprLocalWriteAddrA], v[vgprG2LA+24] offset:24768 // lwoA_0_0_24_0 = (0*LSCA)*(MT0I+PAD) + (24*LSPA) = 24768
_ds_store_b32 v[vgprLocalWriteAddrA], v[vgprG2LA+25] offset:25800 // lwoA_0_0_25_0 = (0*LSCA)*(MT0I+PAD) + (25*LSPA) = 25800
_ds_store_b32 v[vgprLocalWriteAddrA], v[vgprG2LA+26] offset:26832 // lwoA_0_0_26_0 = (0*LSCA)*(MT0I+PAD) + (26*LSPA) = 26832
_ds_store_b32 v[vgprLocalWriteAddrA], v[vgprG2LA+27] offset:27864 // lwoA_0_0_27_0 = (0*LSCA)*(MT0I+PAD) + (27*LSPA) = 27864
_ds_store_b32 v[vgprLocalWriteAddrA], v[vgprG2LA+28] offset:28896 // lwoA_0_0_28_0 = (0*LSCA)*(MT0I+PAD) + (28*LSPA) = 28896
_ds_store_b32 v[vgprLocalWriteAddrA], v[vgprG2LA+29] offset:29928 // lwoA_0_0_29_0 = (0*LSCA)*(MT0I+PAD) + (29*LSPA) = 29928
_ds_store_b32 v[vgprLocalWriteAddrA], v[vgprG2LA+30] offset:30960 // lwoA_0_0_30_0 = (0*LSCA)*(MT0I+PAD) + (30*LSPA) = 30960
_ds_store_b32 v[vgprLocalWriteAddrA], v[vgprG2LA+31] offset:31992 // lwoA_0_0_31_0 = (0*LSCA)*(MT0I+PAD) + (31*LSPA) = 31992

/* local write b */
_ds_store_b32 v[vgprLocalWriteAddrB], v[vgprG2LB+0] offset:0 // lwoB_0_0_0_0 = (0*LSCB)*(MT1J+PAD) + (0*LSPB) = 0
_ds_store_b32 v[vgprLocalWriteAddrB], v[vgprG2LB+1] offset:1088 // lwoB_0_0_1_0 = (0*LSCB)*(MT1J+PAD) + (1*LSPB) = 1088
_ds_store_b32 v[vgprLocalWriteAddrB], v[vgprG2LB+2] offset:2176 // lwoB_0_0_2_0 = (0*LSCB)*(MT1J+PAD) + (2*LSPB) = 2176
_ds_store_b32 v[vgprLocalWriteAddrB], v[vgprG2LB+3] offset:3264 // lwoB_0_0_3_0 = (0*LSCB)*(MT1J+PAD) + (3*LSPB) = 3264
_ds_store_b32 v[vgprLocalWriteAddrB], v[vgprG2LB+4] offset:4352 // lwoB_0_0_4_0 = (0*LSCB)*(MT1J+PAD) + (4*LSPB) = 4352
_ds_store_b32 v[vgprLocalWriteAddrB], v[vgprG2LB+5] offset:5440 // lwoB_0_0_5_0 = (0*LSCB)*(MT1J+PAD) + (5*LSPB) = 5440
_ds_store_b32 v[vgprLocalWriteAddrB], v[vgprG2LB+6] offset:6528 // lwoB_0_0_6_0 = (0*LSCB)*(MT1J+PAD) + (6*LSPB) = 6528
_ds_store_b32 v[vgprLocalWriteAddrB], v[vgprG2LB+7] offset:7616 // lwoB_0_0_7_0 = (0*LSCB)*(MT1J+PAD) + (7*LSPB) = 7616
_ds_store_b32 v[vgprLocalWriteAddrB], v[vgprG2LB+8] offset:8704 // lwoB_0_0_8_0 = (0*LSCB)*(MT1J+PAD) + (8*LSPB) = 8704
_ds_store_b32 v[vgprLocalWriteAddrB], v[vgprG2LB+9] offset:9792 // lwoB_0_0_9_0 = (0*LSCB)*(MT1J+PAD) + (9*LSPB) = 9792
_ds_store_b32 v[vgprLocalWriteAddrB], v[vgprG2LB+10] offset:10880 // lwoB_0_0_10_0 = (0*LSCB)*(MT1J+PAD) + (10*LSPB) = 10880
_ds_store_b32 v[vgprLocalWriteAddrB], v[vgprG2LB+11] offset:11968 // lwoB_0_0_11_0 = (0*LSCB)*(MT1J+PAD) + (11*LSPB) = 11968
_ds_store_b32 v[vgprLocalWriteAddrB], v[vgprG2LB+12] offset:13056 // lwoB_0_0_12_0 = (0*LSCB)*(MT1J+PAD) + (12*LSPB) = 13056
_ds_store_b32 v[vgprLocalWriteAddrB], v[vgprG2LB+13] offset:14144 // lwoB_0_0_13_0 = (0*LSCB)*(MT1J+PAD) + (13*LSPB) = 14144
_ds_store_b32 v[vgprLocalWriteAddrB], v[vgprG2LB+14] offset:15232 // lwoB_0_0_14_0 = (0*LSCB)*(MT1J+PAD) + (14*LSPB) = 15232
_ds_store_b32 v[vgprLocalWriteAddrB], v[vgprG2LB+15] offset:16320 // lwoB_0_0_15_0 = (0*LSCB)*(MT1J+PAD) + (15*LSPB) = 16320
_ds_store_b32 v[vgprLocalWriteAddrB], v[vgprG2LB+16] offset:17408 // lwoB_0_0_16_0 = (0*LSCB)*(MT1J+PAD) + (16*LSPB) = 17408
_ds_store_b32 v[vgprLocalWriteAddrB], v[vgprG2LB+17] offset:18496 // lwoB_0_0_17_0 = (0*LSCB)*(MT1J+PAD) + (17*LSPB) = 18496
_ds_store_b32 v[vgprLocalWriteAddrB], v[vgprG2LB+18] offset:19584 // lwoB_0_0_18_0 = (0*LSCB)*(MT1J+PAD) + (18*LSPB) = 19584
_ds_store_b32 v[vgprLocalWriteAddrB], v[vgprG2LB+19] offset:20672 // lwoB_0_0_19_0 = (0*LSCB)*(MT1J+PAD) + (19*LSPB) = 20672
_ds_store_b32 v[vgprLocalWriteAddrB], v[vgprG2LB+20] offset:21760 // lwoB_0_0_20_0 = (0*LSCB)*(MT1J+PAD) + (20*LSPB) = 21760
_ds_store_b32 v[vgprLocalWriteAddrB], v[vgprG2LB+21] offset:22848 // lwoB_0_0_21_0 = (0*LSCB)*(MT1J+PAD) + (21*LSPB) = 22848
_ds_store_b32 v[vgprLocalWriteAddrB], v[vgprG2LB+22] offset:23936 // lwoB_0_0_22_0 = (0*LSCB)*(MT1J+PAD) + (22*LSPB) = 23936
_ds_store_b32 v[vgprLocalWriteAddrB], v[vgprG2LB+23] offset:25024 // lwoB_0_0_23_0 = (0*LSCB)*(MT1J+PAD) + (23*LSPB) = 25024
_ds_store_b32 v[vgprLocalWriteAddrB], v[vgprG2LB+24] offset:26112 // lwoB_0_0_24_0 = (0*LSCB)*(MT1J+PAD) + (24*LSPB) = 26112
_ds_store_b32 v[vgprLocalWriteAddrB], v[vgprG2LB+25] offset:27200 // lwoB_0_0_25_0 = (0*LSCB)*(MT1J+PAD) + (25*LSPB) = 27200
_ds_store_b32 v[vgprLocalWriteAddrB], v[vgprG2LB+26] offset:28288 // lwoB_0_0_26_0 = (0*LSCB)*(MT1J+PAD) + (26*LSPB) = 28288
_ds_store_b32 v[vgprLocalWriteAddrB], v[vgprG2LB+27] offset:29376 // lwoB_0_0_27_0 = (0*LSCB)*(MT1J+PAD) + (27*LSPB) = 29376


/* local write swap a */


	;; [unrolled: 1-line block ×3, first 2 shown]
/* local write swap b */


	;; [unrolled: 1-line block ×4, first 2 shown]
s_cmp_eq_u32 s[sgprLoopCounterL] 0x1               // PGR=2 but only 1 loop
s_cbranch_scc1 label_0012                          // PGR=2 but only 1 loop


_buffer_load_b32 v[vgprG2LA+0], v[vgprGlobalReadOffsetA+0], s[sgprSrdA:sgprSrdA+3], 0, offen offset:0 // G -> Reg 0_0_0_0
_buffer_load_b32 v[vgprG2LA+1], v[vgprGlobalReadOffsetA+1], s[sgprSrdA:sgprSrdA+3], 0, offen offset:0 // G -> Reg 0_0_1_0
_buffer_load_b32 v[vgprG2LA+2], v[vgprGlobalReadOffsetA+2], s[sgprSrdA:sgprSrdA+3], 0, offen offset:0 // G -> Reg 0_0_2_0
_buffer_load_b32 v[vgprG2LA+3], v[vgprGlobalReadOffsetA+3], s[sgprSrdA:sgprSrdA+3], 0, offen offset:0 // G -> Reg 0_0_3_0
_buffer_load_b32 v[vgprG2LA+4], v[vgprGlobalReadOffsetA+4], s[sgprSrdA:sgprSrdA+3], 0, offen offset:0 // G -> Reg 0_0_4_0
_buffer_load_b32 v[vgprG2LA+5], v[vgprGlobalReadOffsetA+5], s[sgprSrdA:sgprSrdA+3], 0, offen offset:0 // G -> Reg 0_0_5_0
_buffer_load_b32 v[vgprG2LA+6], v[vgprGlobalReadOffsetA+6], s[sgprSrdA:sgprSrdA+3], 0, offen offset:0 // G -> Reg 0_0_6_0
_buffer_load_b32 v[vgprG2LA+7], v[vgprGlobalReadOffsetA+7], s[sgprSrdA:sgprSrdA+3], 0, offen offset:0 // G -> Reg 0_0_7_0
_buffer_load_b32 v[vgprG2LA+8], v[vgprGlobalReadOffsetA+8], s[sgprSrdA:sgprSrdA+3], 0, offen offset:0 // G -> Reg 0_0_8_0
_buffer_load_b32 v[vgprG2LA+9], v[vgprGlobalReadOffsetA+9], s[sgprSrdA:sgprSrdA+3], 0, offen offset:0 // G -> Reg 0_0_9_0
_buffer_load_b32 v[vgprG2LA+10], v[vgprGlobalReadOffsetA+10], s[sgprSrdA:sgprSrdA+3], 0, offen offset:0 // G -> Reg 0_0_10_0
_buffer_load_b32 v[vgprG2LA+11], v[vgprGlobalReadOffsetA+11], s[sgprSrdA:sgprSrdA+3], 0, offen offset:0 // G -> Reg 0_0_11_0
_buffer_load_b32 v[vgprG2LA+12], v[vgprGlobalReadOffsetA+12], s[sgprSrdA:sgprSrdA+3], 0, offen offset:0 // G -> Reg 0_0_12_0
_buffer_load_b32 v[vgprG2LA+13], v[vgprGlobalReadOffsetA+13], s[sgprSrdA:sgprSrdA+3], 0, offen offset:0 // G -> Reg 0_0_13_0
_buffer_load_b32 v[vgprG2LA+14], v[vgprGlobalReadOffsetA+14], s[sgprSrdA:sgprSrdA+3], 0, offen offset:0 // G -> Reg 0_0_14_0
_buffer_load_b32 v[vgprG2LA+15], v[vgprGlobalReadOffsetA+15], s[sgprSrdA:sgprSrdA+3], 0, offen offset:0 // G -> Reg 0_0_15_0
_buffer_load_b32 v[vgprG2LA+16], v[vgprGlobalReadOffsetA+16], s[sgprSrdA:sgprSrdA+3], 0, offen offset:0 // G -> Reg 0_0_16_0
_buffer_load_b32 v[vgprG2LA+17], v[vgprGlobalReadOffsetA+17], s[sgprSrdA:sgprSrdA+3], 0, offen offset:0 // G -> Reg 0_0_17_0
_buffer_load_b32 v[vgprG2LA+18], v[vgprGlobalReadOffsetA+18], s[sgprSrdA:sgprSrdA+3], 0, offen offset:0 // G -> Reg 0_0_18_0
_buffer_load_b32 v[vgprG2LA+19], v[vgprGlobalReadOffsetA+19], s[sgprSrdA:sgprSrdA+3], 0, offen offset:0 // G -> Reg 0_0_19_0
_buffer_load_b32 v[vgprG2LA+20], v[vgprGlobalReadOffsetA+20], s[sgprSrdA:sgprSrdA+3], 0, offen offset:0 // G -> Reg 0_0_20_0
_buffer_load_b32 v[vgprG2LA+21], v[vgprGlobalReadOffsetA+21], s[sgprSrdA:sgprSrdA+3], 0, offen offset:0 // G -> Reg 0_0_21_0
_buffer_load_b32 v[vgprG2LA+22], v[vgprGlobalReadOffsetA+22], s[sgprSrdA:sgprSrdA+3], 0, offen offset:0 // G -> Reg 0_0_22_0
_buffer_load_b32 v[vgprG2LA+23], v[vgprGlobalReadOffsetA+23], s[sgprSrdA:sgprSrdA+3], 0, offen offset:0 // G -> Reg 0_0_23_0
_buffer_load_b32 v[vgprG2LA+24], v[vgprGlobalReadOffsetA+24], s[sgprSrdA:sgprSrdA+3], 0, offen offset:0 // G -> Reg 0_0_24_0
_buffer_load_b32 v[vgprG2LA+25], v[vgprGlobalReadOffsetA+25], s[sgprSrdA:sgprSrdA+3], 0, offen offset:0 // G -> Reg 0_0_25_0
_buffer_load_b32 v[vgprG2LA+26], v[vgprGlobalReadOffsetA+26], s[sgprSrdA:sgprSrdA+3], 0, offen offset:0 // G -> Reg 0_0_26_0
_buffer_load_b32 v[vgprG2LA+27], v[vgprGlobalReadOffsetA+27], s[sgprSrdA:sgprSrdA+3], 0, offen offset:0 // G -> Reg 0_0_27_0
_buffer_load_b32 v[vgprG2LA+28], v[vgprGlobalReadOffsetA+28], s[sgprSrdA:sgprSrdA+3], 0, offen offset:0 // G -> Reg 0_0_28_0
_buffer_load_b32 v[vgprG2LA+29], v[vgprGlobalReadOffsetA+29], s[sgprSrdA:sgprSrdA+3], 0, offen offset:0 // G -> Reg 0_0_29_0
_buffer_load_b32 v[vgprG2LA+30], v[vgprGlobalReadOffsetA+30], s[sgprSrdA:sgprSrdA+3], 0, offen offset:0 // G -> Reg 0_0_30_0
_buffer_load_b32 v[vgprG2LA+31], v[vgprGlobalReadOffsetA+31], s[sgprSrdA:sgprSrdA+3], 0, offen offset:0 // G -> Reg 0_0_31_0


_buffer_load_b32 v[vgprG2LB+0], v[vgprGlobalReadOffsetB+0], s[sgprSrdB:sgprSrdB+3], 0, offen offset:0 // G -> Reg 0_0_0_0
_buffer_load_b32 v[vgprG2LB+1], v[vgprGlobalReadOffsetB+1], s[sgprSrdB:sgprSrdB+3], 0, offen offset:0 // G -> Reg 0_0_1_0
_buffer_load_b32 v[vgprG2LB+2], v[vgprGlobalReadOffsetB+2], s[sgprSrdB:sgprSrdB+3], 0, offen offset:0 // G -> Reg 0_0_2_0
_buffer_load_b32 v[vgprG2LB+3], v[vgprGlobalReadOffsetB+3], s[sgprSrdB:sgprSrdB+3], 0, offen offset:0 // G -> Reg 0_0_3_0
_buffer_load_b32 v[vgprG2LB+4], v[vgprGlobalReadOffsetB+4], s[sgprSrdB:sgprSrdB+3], 0, offen offset:0 // G -> Reg 0_0_4_0
_buffer_load_b32 v[vgprG2LB+5], v[vgprGlobalReadOffsetB+5], s[sgprSrdB:sgprSrdB+3], 0, offen offset:0 // G -> Reg 0_0_5_0
_buffer_load_b32 v[vgprG2LB+6], v[vgprGlobalReadOffsetB+6], s[sgprSrdB:sgprSrdB+3], 0, offen offset:0 // G -> Reg 0_0_6_0
_buffer_load_b32 v[vgprG2LB+7], v[vgprGlobalReadOffsetB+7], s[sgprSrdB:sgprSrdB+3], 0, offen offset:0 // G -> Reg 0_0_7_0
_buffer_load_b32 v[vgprG2LB+8], v[vgprGlobalReadOffsetB+8], s[sgprSrdB:sgprSrdB+3], 0, offen offset:0 // G -> Reg 0_0_8_0
_buffer_load_b32 v[vgprG2LB+9], v[vgprGlobalReadOffsetB+9], s[sgprSrdB:sgprSrdB+3], 0, offen offset:0 // G -> Reg 0_0_9_0
_buffer_load_b32 v[vgprG2LB+10], v[vgprGlobalReadOffsetB+10], s[sgprSrdB:sgprSrdB+3], 0, offen offset:0 // G -> Reg 0_0_10_0
_buffer_load_b32 v[vgprG2LB+11], v[vgprGlobalReadOffsetB+11], s[sgprSrdB:sgprSrdB+3], 0, offen offset:0 // G -> Reg 0_0_11_0
_buffer_load_b32 v[vgprG2LB+12], v[vgprGlobalReadOffsetB+12], s[sgprSrdB:sgprSrdB+3], 0, offen offset:0 // G -> Reg 0_0_12_0
_buffer_load_b32 v[vgprG2LB+13], v[vgprGlobalReadOffsetB+13], s[sgprSrdB:sgprSrdB+3], 0, offen offset:0 // G -> Reg 0_0_13_0
_buffer_load_b32 v[vgprG2LB+14], v[vgprGlobalReadOffsetB+14], s[sgprSrdB:sgprSrdB+3], 0, offen offset:0 // G -> Reg 0_0_14_0
_buffer_load_b32 v[vgprG2LB+15], v[vgprGlobalReadOffsetB+15], s[sgprSrdB:sgprSrdB+3], 0, offen offset:0 // G -> Reg 0_0_15_0
_buffer_load_b32 v[vgprG2LB+16], v[vgprGlobalReadOffsetB+16], s[sgprSrdB:sgprSrdB+3], 0, offen offset:0 // G -> Reg 0_0_16_0
_buffer_load_b32 v[vgprG2LB+17], v[vgprGlobalReadOffsetB+17], s[sgprSrdB:sgprSrdB+3], 0, offen offset:0 // G -> Reg 0_0_17_0
_buffer_load_b32 v[vgprG2LB+18], v[vgprGlobalReadOffsetB+18], s[sgprSrdB:sgprSrdB+3], 0, offen offset:0 // G -> Reg 0_0_18_0
_buffer_load_b32 v[vgprG2LB+19], v[vgprGlobalReadOffsetB+19], s[sgprSrdB:sgprSrdB+3], 0, offen offset:0 // G -> Reg 0_0_19_0
_buffer_load_b32 v[vgprG2LB+20], v[vgprGlobalReadOffsetB+20], s[sgprSrdB:sgprSrdB+3], 0, offen offset:0 // G -> Reg 0_0_20_0
_buffer_load_b32 v[vgprG2LB+21], v[vgprGlobalReadOffsetB+21], s[sgprSrdB:sgprSrdB+3], 0, offen offset:0 // G -> Reg 0_0_21_0
_buffer_load_b32 v[vgprG2LB+22], v[vgprGlobalReadOffsetB+22], s[sgprSrdB:sgprSrdB+3], 0, offen offset:0 // G -> Reg 0_0_22_0
_buffer_load_b32 v[vgprG2LB+23], v[vgprGlobalReadOffsetB+23], s[sgprSrdB:sgprSrdB+3], 0, offen offset:0 // G -> Reg 0_0_23_0
_buffer_load_b32 v[vgprG2LB+24], v[vgprGlobalReadOffsetB+24], s[sgprSrdB:sgprSrdB+3], 0, offen offset:0 // G -> Reg 0_0_24_0
_buffer_load_b32 v[vgprG2LB+25], v[vgprGlobalReadOffsetB+25], s[sgprSrdB:sgprSrdB+3], 0, offen offset:0 // G -> Reg 0_0_25_0
_buffer_load_b32 v[vgprG2LB+26], v[vgprGlobalReadOffsetB+26], s[sgprSrdB:sgprSrdB+3], 0, offen offset:0 // G -> Reg 0_0_26_0
_buffer_load_b32 v[vgprG2LB+27], v[vgprGlobalReadOffsetB+27], s[sgprSrdB:sgprSrdB+3], 0, offen offset:0 // G -> Reg 0_0_27_0

label_0012:                                        // 

s_waitcnt lgkmcnt(0)                               // lgkmcnt=0 vmcnt=-10prefetch wait for local write

// Skip force waitcnt0
s_barrier //


/* local read prefetch a */

_ds_load_b64 v[vgprValuA_X0_I0+0:vgprValuA_X0_I0+0+1], v[vgprLocalReadAddrA] offset:0 // L -> Reg lro=0 swapByteOffset=0 ti=256 vIdx=0 rIdx=0 oIdx=0 buffer=0 iui=0
_ds_load_b64 v[vgprValuA_X0_I0+2:vgprValuA_X0_I0+2+1], v[vgprLocalReadAddrA] offset:128 // L -> Reg lro=0 swapByteOffset=0 ti=256 vIdx=0 rIdx=0 oIdx=0 buffer=0 iui=0
	;; [unrolled: 1-line block ×8, first 2 shown]


/* local read prefetch b */

_ds_load_b64 v[vgprValuB_X0_I0+0:vgprValuB_X0_I0+0+1], v[vgprLocalReadAddrB] offset:0 // L -> Reg lro=0 swapByteOffset=0 ti=32 vIdx=0 rIdx=0 oIdx=0 buffer=0 iui=0
_ds_load_b64 v[vgprValuB_X0_I0+2:vgprValuB_X0_I0+2+1], v[vgprLocalReadAddrB] offset:4352 // L -> Reg lro=0 swapByteOffset=0 ti=32 vIdx=1 rIdx=0 oIdx=0 buffer=0 iui=0
	;; [unrolled: 1-line block ×7, first 2 shown]


/* local read inc a */

/* N/A, lro->32 */
/* self.localReadDoCntA 1 self.localReadDoCntB 1 */


/* local read inc b */

/* N/A, lro->32 */
/* self.localReadDoCntA 1 self.localReadDoCntB 1 */


	;; [unrolled: 1-line block ×3, first 2 shown]
/******************************************/
/* Unrolled Loop(s) - Begin               */
/******************************************/

openLoopL_13:
s_cmp_eq_u32 s[sgprLoopCounterL], 0x1              // LoopCounterL < EndCounter
s_cbranch_scc1 label_0014                          // PGR=2 but only 1 loop, toPGR1
s_cmp_le_u32 s[sgprLoopCounterL], 0x2              // LoopCounterL < EndCounter
s_cbranch_scc1 LoopEndL_evenexit_4                 // do not enter LoopL
LoopBeginL_1:


/******************************************/
/* Unrolled Loop 1/2 - Begin              */
/******************************************/

label_0015: // LoopCopy1 


/* Begin Each Unroll: Check VGPR.checkin for INT8 LW */


	;; [unrolled: 1-line block ×3, first 2 shown]
/* iter 0 */

/*  grEndMfmaIndex:18, lwStartMfmaIndex:52, lwEndMfmaIndex:198  */
/*  numMfmaForLR:20, barrierMfmaIndex:203, LocalWritePerMfma:0.405 */
/*  mfmaIndex:0  */
s_waitcnt lgkmcnt(0)                               // lgkmcnt=0 vmcnt=-1wait for prior local read local write old=0, new=0 newLW=0 newLR=0
v_mfma_f32_16x16x32_bf8_bf8 a[0+0:3+0], v[vgprValuB_X0_I0+0+0+0:vgprValuB_X0_I0+0+0+0+1], v[vgprValuA_X0_I0+0+0+0:vgprValuA_X0_I0+0+0+0+1], a[0:3]
/*  mfmaIndex:1  */
_ds_load_b64 v[vgprValuA_X1_I0+0:vgprValuA_X1_I0+0+1], v[vgprLocalReadAddrA] offset:32 // L -> Reg lro=32 swapByteOffset=0 ti=256 vIdx=0 rIdx=0 oIdx=0 buffer=1 iui=0

/* global read inc A loopL */
s_cmp_eq_u32 s[sgprLoopCounterL], s[sgprStaggerUIter] // Is this the wrapIter?
v_mfma_f32_16x16x32_bf8_bf8 a[4+0:7+0], v[vgprValuB_X0_I0+0+0+0:vgprValuB_X0_I0+0+0+0+1], v[vgprValuA_X0_I0+2+0+0:vgprValuA_X0_I0+2+0+0+1], a[4:7]
/*  mfmaIndex:2  */
_ds_load_b64 v[vgprValuB_X1_I0+0:vgprValuB_X1_I0+0+1], v[vgprLocalReadAddrB] offset:32 // L -> Reg lro=32 swapByteOffset=0 ti=32 vIdx=0 rIdx=0 oIdx=0 buffer=1 iui=0
s_cselect_b32 s56, s[sgprWrapUA+0], s[sgprGlobalReadIncsA+0] // incLower <- ?
v_mfma_f32_16x16x32_bf8_bf8 a[8+0:11+0], v[vgprValuB_X0_I0+0+0+0:vgprValuB_X0_I0+0+0+0+1], v[vgprValuA_X0_I0+4+0+0:vgprValuA_X0_I0+4+0+0+1], a[8:11]
/*  mfmaIndex:3  */
_ds_load_b64 v[vgprValuA_X1_I0+2:vgprValuA_X1_I0+2+1], v[vgprLocalReadAddrA] offset:160 // L -> Reg lro=32 swapByteOffset=0 ti=256 vIdx=0 rIdx=0 oIdx=0 buffer=1 iui=0
s_cselect_b32 s57, s[sgprWrapUA+1], 0              // incUpper <- ?
v_mfma_f32_16x16x32_bf8_bf8 a[12+0:15+0], v[vgprValuB_X0_I0+0+0+0:vgprValuB_X0_I0+0+0+0+1], v[vgprValuA_X0_I0+6+0+0:vgprValuA_X0_I0+6+0+0+1], a[12:15]
/*  mfmaIndex:4  */
_ds_load_b64 v[vgprValuA_X1_I0+4:vgprValuA_X1_I0+4+1], v[vgprLocalReadAddrA] offset:288 // L -> Reg lro=32 swapByteOffset=0 ti=256 vIdx=0 rIdx=0 oIdx=0 buffer=1 iui=0
s_add_u32 s[sgprSrdA+0], s[sgprSrdA+0], s56        // gra SRD += inc(lower)
v_mfma_f32_16x16x32_bf8_bf8 a[16+0:19+0], v[vgprValuB_X0_I0+0+0+0:vgprValuB_X0_I0+0+0+0+1], v[vgprValuA_X0_I0+8+0+0:vgprValuA_X0_I0+8+0+0+1], a[16:19]
/*  mfmaIndex:5  */
_ds_load_b64 v[vgprValuA_X1_I0+6:vgprValuA_X1_I0+6+1], v[vgprLocalReadAddrA] offset:416 // L -> Reg lro=32 swapByteOffset=0 ti=256 vIdx=0 rIdx=0 oIdx=0 buffer=1 iui=0
s_addc_u32  s[sgprSrdA+1], s[sgprSrdA+1], s57      // gra SRD += inc(upper)
v_mfma_f32_16x16x32_bf8_bf8 a[20+0:23+0], v[vgprValuB_X0_I0+0+0+0:vgprValuB_X0_I0+0+0+0+1], v[vgprValuA_X0_I0+10+0+0:vgprValuA_X0_I0+10+0+0+1], a[20:23]
/*  mfmaIndex:6  */
_ds_load_b64 v[vgprValuA_X1_I0+8:vgprValuA_X1_I0+8+1], v[vgprLocalReadAddrA] offset:544 // L -> Reg lro=32 swapByteOffset=0 ti=256 vIdx=0 rIdx=0 oIdx=0 buffer=1 iui=0
s_sub_u32 s[sgprShadowLimitA+0], s[sgprShadowLimitA+0], s56 // limit -= inc)
v_mfma_f32_16x16x32_bf8_bf8 a[24+0:27+0], v[vgprValuB_X0_I0+0+0+0:vgprValuB_X0_I0+0+0+0+1], v[vgprValuA_X0_I0+12+0+0:vgprValuA_X0_I0+12+0+0+1], a[24:27]
/*  mfmaIndex:7  */
_ds_load_b64 v[vgprValuA_X1_I0+10:vgprValuA_X1_I0+10+1], v[vgprLocalReadAddrA] offset:672 // L -> Reg lro=32 swapByteOffset=0 ti=256 vIdx=0 rIdx=0 oIdx=0 buffer=1 iui=0
s_subb_u32 s[sgprShadowLimitA+1], s[sgprShadowLimitA+1], s57 // limit -= inc)
v_mfma_f32_16x16x32_bf8_bf8 a[28+0:31+0], v[vgprValuB_X0_I0+0+0+0:vgprValuB_X0_I0+0+0+0+1], v[vgprValuA_X0_I0+14+0+0:vgprValuA_X0_I0+14+0+0+1], a[28:31]
/*  mfmaIndex:8  */
_ds_load_b64 v[vgprValuA_X1_I0+12:vgprValuA_X1_I0+12+1], v[vgprLocalReadAddrA] offset:800 // L -> Reg lro=32 swapByteOffset=0 ti=256 vIdx=0 rIdx=0 oIdx=0 buffer=1 iui=0
s_cmp_eq_u32 s[sgprShadowLimitA+1], 0              // are we within 2^32?
v_mfma_f32_16x16x32_bf8_bf8 a[60+0:63+0], v[vgprValuB_X0_I0+2+0+0:vgprValuB_X0_I0+2+0+0+1], v[vgprValuA_X0_I0+14+0+0:vgprValuA_X0_I0+14+0+0+1], a[60:63]
/*  mfmaIndex:9  */
_ds_load_b64 v[vgprValuA_X1_I0+14:vgprValuA_X1_I0+14+1], v[vgprLocalReadAddrA] offset:928 // L -> Reg lro=32 swapByteOffset=0 ti=256 vIdx=0 rIdx=0 oIdx=0 buffer=1 iui=0
s_cselect_b32 s[sgprSrdA+2], s[sgprShadowLimitA+0], BufferLimitA // Move shadow to real if we are within 2^32
v_mfma_f32_16x16x32_bf8_bf8 a[56+0:59+0], v[vgprValuB_X0_I0+2+0+0:vgprValuB_X0_I0+2+0+0+1], v[vgprValuA_X0_I0+12+0+0:vgprValuA_X0_I0+12+0+0+1], a[56:59]
/*  mfmaIndex:10  */
_ds_load_b64 v[vgprValuB_X1_I0+2:vgprValuB_X1_I0+2+1], v[vgprLocalReadAddrB] offset:4384 // L -> Reg lro=32 swapByteOffset=0 ti=32 vIdx=1 rIdx=0 oIdx=0 buffer=1 iui=0

/* global read inc B loopL */
s_cmp_eq_u32 s[sgprLoopCounterL], s[sgprStaggerUIter] // Is this the wrapIter?
v_mfma_f32_16x16x32_bf8_bf8 a[52+0:55+0], v[vgprValuB_X0_I0+2+0+0:vgprValuB_X0_I0+2+0+0+1], v[vgprValuA_X0_I0+10+0+0:vgprValuA_X0_I0+10+0+0+1], a[52:55]
/*  mfmaIndex:11  */
_ds_load_b64 v[vgprValuB_X1_I0+4:vgprValuB_X1_I0+4+1], v[vgprLocalReadAddrB] offset:8736 // L -> Reg lro=32 swapByteOffset=0 ti=32 vIdx=2 rIdx=0 oIdx=0 buffer=1 iui=0
s_cselect_b32 s56, s[sgprWrapUB+0], s[sgprGlobalReadIncsB+0] // incLower <- ?
v_mfma_f32_16x16x32_bf8_bf8 a[48+0:51+0], v[vgprValuB_X0_I0+2+0+0:vgprValuB_X0_I0+2+0+0+1], v[vgprValuA_X0_I0+8+0+0:vgprValuA_X0_I0+8+0+0+1], a[48:51]
/*  mfmaIndex:12  */
_ds_load_b64 v[vgprValuB_X1_I0+6:vgprValuB_X1_I0+6+1], v[vgprLocalReadAddrB] offset:13088 // L -> Reg lro=32 swapByteOffset=0 ti=32 vIdx=3 rIdx=0 oIdx=0 buffer=1 iui=0
s_cselect_b32 s57, s[sgprWrapUB+1], 0              // incUpper <- ?
v_mfma_f32_16x16x32_bf8_bf8 a[44+0:47+0], v[vgprValuB_X0_I0+2+0+0:vgprValuB_X0_I0+2+0+0+1], v[vgprValuA_X0_I0+6+0+0:vgprValuA_X0_I0+6+0+0+1], a[44:47]
/*  mfmaIndex:13  */
_ds_load_b64 v[vgprValuB_X1_I0+8:vgprValuB_X1_I0+8+1], v[vgprLocalReadAddrB] offset:17440 // L -> Reg lro=32 swapByteOffset=0 ti=32 vIdx=4 rIdx=0 oIdx=0 buffer=1 iui=0
s_add_u32 s[sgprSrdB+0], s[sgprSrdB+0], s56        // gra SRD += inc(lower)
v_mfma_f32_16x16x32_bf8_bf8 a[40+0:43+0], v[vgprValuB_X0_I0+2+0+0:vgprValuB_X0_I0+2+0+0+1], v[vgprValuA_X0_I0+4+0+0:vgprValuA_X0_I0+4+0+0+1], a[40:43]
/*  mfmaIndex:14  */
_ds_load_b64 v[vgprValuB_X1_I0+10:vgprValuB_X1_I0+10+1], v[vgprLocalReadAddrB] offset:21792 // L -> Reg lro=32 swapByteOffset=0 ti=32 vIdx=5 rIdx=0 oIdx=0 buffer=1 iui=0
s_addc_u32  s[sgprSrdB+1], s[sgprSrdB+1], s57      // gra SRD += inc(upper)
v_mfma_f32_16x16x32_bf8_bf8 a[36+0:39+0], v[vgprValuB_X0_I0+2+0+0:vgprValuB_X0_I0+2+0+0+1], v[vgprValuA_X0_I0+2+0+0:vgprValuA_X0_I0+2+0+0+1], a[36:39]
/*  mfmaIndex:15  */
_ds_load_b64 v[vgprValuB_X1_I0+12:vgprValuB_X1_I0+12+1], v[vgprLocalReadAddrB] offset:26144 // L -> Reg lro=32 swapByteOffset=0 ti=32 vIdx=6 rIdx=0 oIdx=0 buffer=1 iui=0
s_sub_u32 s[sgprShadowLimitB+0], s[sgprShadowLimitB+0], s56 // limit -= inc)
v_mfma_f32_16x16x32_bf8_bf8 a[32+0:35+0], v[vgprValuB_X0_I0+2+0+0:vgprValuB_X0_I0+2+0+0+1], v[vgprValuA_X0_I0+0+0+0:vgprValuA_X0_I0+0+0+0+1], a[32:35]
/*  mfmaIndex:16  */
/* localReadsVacancy: latencyLeft 2 */
_ds_load_b64 v[vgprValuA_X2_I0+0:vgprValuA_X2_I0+0+1], v[vgprLocalReadAddrA] offset:64 // L -> Reg lro=64 swapByteOffset=0 ti=256 vIdx=0 rIdx=0 oIdx=0 buffer=2 iui=0
s_subb_u32 s[sgprShadowLimitB+1], s[sgprShadowLimitB+1], s57 // limit -= inc)
v_mfma_f32_16x16x32_bf8_bf8 a[64+0:67+0], v[vgprValuB_X0_I0+4+0+0:vgprValuB_X0_I0+4+0+0+1], v[vgprValuA_X0_I0+0+0+0:vgprValuA_X0_I0+0+0+0+1], a[64:67]
/*  mfmaIndex:17  */
/* localReadsVacancy: latencyLeft 2 */
_ds_load_b64 v[vgprValuB_X2_I0+0:vgprValuB_X2_I0+0+1], v[vgprLocalReadAddrB] offset:64 // L -> Reg lro=64 swapByteOffset=0 ti=32 vIdx=0 rIdx=0 oIdx=0 buffer=2 iui=0
s_cmp_eq_u32 s[sgprShadowLimitB+1], 0              // are we within 2^32?
v_mfma_f32_16x16x32_bf8_bf8 a[68+0:71+0], v[vgprValuB_X0_I0+4+0+0:vgprValuB_X0_I0+4+0+0+1], v[vgprValuA_X0_I0+2+0+0:vgprValuA_X0_I0+2+0+0+1], a[68:71]
/*  mfmaIndex:18  */
/* localReadsVacancy: latencyLeft 2 */
_ds_load_b64 v[vgprValuA_X2_I0+2:vgprValuA_X2_I0+2+1], v[vgprLocalReadAddrA] offset:192 // L -> Reg lro=64 swapByteOffset=0 ti=256 vIdx=0 rIdx=0 oIdx=0 buffer=2 iui=0
s_cselect_b32 s[sgprSrdB+2], s[sgprShadowLimitB+0], BufferLimitB // Move shadow to real if we are within 2^32
v_mfma_f32_16x16x32_bf8_bf8 a[72+0:75+0], v[vgprValuB_X0_I0+4+0+0:vgprValuB_X0_I0+4+0+0+1], v[vgprValuA_X0_I0+4+0+0:vgprValuA_X0_I0+4+0+0+1], a[72:75]
/*  mfmaIndex:19  */
/* localReadsVacancy: latencyLeft 2 */
_ds_load_b64 v[vgprValuA_X2_I0+4:vgprValuA_X2_I0+4+1], v[vgprLocalReadAddrA] offset:320 // L -> Reg lro=64 swapByteOffset=0 ti=256 vIdx=0 rIdx=0 oIdx=0 buffer=2 iui=0
v_mfma_f32_16x16x32_bf8_bf8 a[76+0:79+0], v[vgprValuB_X0_I0+4+0+0:vgprValuB_X0_I0+4+0+0+1], v[vgprValuA_X0_I0+6+0+0:vgprValuA_X0_I0+6+0+0+1], a[76:79]
/*  mfmaIndex:20  */
/* localReadsVacancy: latencyLeft 2 */
_ds_load_b64 v[vgprValuA_X2_I0+6:vgprValuA_X2_I0+6+1], v[vgprLocalReadAddrA] offset:448 // L -> Reg lro=64 swapByteOffset=0 ti=256 vIdx=0 rIdx=0 oIdx=0 buffer=2 iui=0
	;; [unrolled: 4-line block ×6, first 2 shown]
v_mfma_f32_16x16x32_bf8_bf8 a[124+0:127+0], v[vgprValuB_X0_I0+6+0+0:vgprValuB_X0_I0+6+0+0+1], v[vgprValuA_X0_I0+14+0+0:vgprValuA_X0_I0+14+0+0+1], a[124:127]
/*  mfmaIndex:25  */
/* localReadsVacancy: latencyLeft 2 */
_ds_load_b64 v[vgprValuB_X2_I0+2:vgprValuB_X2_I0+2+1], v[vgprLocalReadAddrB] offset:4416 // L -> Reg lro=64 swapByteOffset=0 ti=32 vIdx=1 rIdx=0 oIdx=0 buffer=2 iui=0
v_mfma_f32_16x16x32_bf8_bf8 a[120+0:123+0], v[vgprValuB_X0_I0+6+0+0:vgprValuB_X0_I0+6+0+0+1], v[vgprValuA_X0_I0+12+0+0:vgprValuA_X0_I0+12+0+0+1], a[120:123]
/*  mfmaIndex:26  */
/* localReadsVacancy: latencyLeft 2 */
_ds_load_b64 v[vgprValuB_X2_I0+4:vgprValuB_X2_I0+4+1], v[vgprLocalReadAddrB] offset:8768 // L -> Reg lro=64 swapByteOffset=0 ti=32 vIdx=2 rIdx=0 oIdx=0 buffer=2 iui=0
	;; [unrolled: 4-line block ×6, first 2 shown]
v_mfma_f32_16x16x32_bf8_bf8 a[100+0:103+0], v[vgprValuB_X0_I0+6+0+0:vgprValuB_X0_I0+6+0+0+1], v[vgprValuA_X0_I0+2+0+0:vgprValuA_X0_I0+2+0+0+1], a[100:103]
/*  mfmaIndex:31  */
/* localReadsVacancy: latencyLeft 2 */
_ds_load_b64 v[vgprValuA_X3_I0+0:vgprValuA_X3_I0+0+1], v[vgprLocalReadAddrA] offset:96 // L -> Reg lro=96 swapByteOffset=0 ti=256 vIdx=0 rIdx=0 oIdx=0 buffer=3 iui=0
v_mfma_f32_16x16x32_bf8_bf8 a[96+0:99+0], v[vgprValuB_X0_I0+6+0+0:vgprValuB_X0_I0+6+0+0+1], v[vgprValuA_X0_I0+0+0+0:vgprValuA_X0_I0+0+0+0+1], a[96:99]
/*  mfmaIndex:32  */
/* localReadsVacancy: latencyLeft 2 */
_ds_load_b64 v[vgprValuB_X3_I0+0:vgprValuB_X3_I0+0+1], v[vgprLocalReadAddrB] offset:96 // L -> Reg lro=96 swapByteOffset=0 ti=32 vIdx=0 rIdx=0 oIdx=0 buffer=3 iui=0
v_mfma_f32_16x16x32_bf8_bf8 a[128+0:131+0], v[vgprValuB_X0_I0+8+0+0:vgprValuB_X0_I0+8+0+0+1], v[vgprValuA_X0_I0+0+0+0:vgprValuA_X0_I0+0+0+0+1], a[128:131]
/*  mfmaIndex:33  */
/* localReadsVacancy: latencyLeft 2 */
_ds_load_b64 v[vgprValuA_X3_I0+2:vgprValuA_X3_I0+2+1], v[vgprLocalReadAddrA] offset:224 // L -> Reg lro=96 swapByteOffset=0 ti=256 vIdx=0 rIdx=0 oIdx=0 buffer=3 iui=0
v_mfma_f32_16x16x32_bf8_bf8 a[132+0:135+0], v[vgprValuB_X0_I0+8+0+0:vgprValuB_X0_I0+8+0+0+1], v[vgprValuA_X0_I0+2+0+0:vgprValuA_X0_I0+2+0+0+1], a[132:135]
/*  mfmaIndex:34  */
/* localReadsVacancy: latencyLeft 2 */
_ds_load_b64 v[vgprValuA_X3_I0+4:vgprValuA_X3_I0+4+1], v[vgprLocalReadAddrA] offset:352 // L -> Reg lro=96 swapByteOffset=0 ti=256 vIdx=0 rIdx=0 oIdx=0 buffer=3 iui=0
	;; [unrolled: 4-line block ×7, first 2 shown]
v_mfma_f32_16x16x32_bf8_bf8 a[156+0:159+0], v[vgprValuB_X0_I0+8+0+0:vgprValuB_X0_I0+8+0+0+1], v[vgprValuA_X0_I0+14+0+0:vgprValuA_X0_I0+14+0+0+1], a[156:159]
/*  mfmaIndex:40  */
/* localReadsVacancy: latencyLeft 2 */
_ds_load_b64 v[vgprValuB_X3_I0+2:vgprValuB_X3_I0+2+1], v[vgprLocalReadAddrB] offset:4448 // L -> Reg lro=96 swapByteOffset=0 ti=32 vIdx=1 rIdx=0 oIdx=0 buffer=3 iui=0
v_mfma_f32_16x16x32_bf8_bf8 a[188+0:191+0], v[vgprValuB_X0_I0+10+0+0:vgprValuB_X0_I0+10+0+0+1], v[vgprValuA_X0_I0+14+0+0:vgprValuA_X0_I0+14+0+0+1], a[188:191]
/*  mfmaIndex:41  */
/* localReadsVacancy: latencyLeft 2 */
_ds_load_b64 v[vgprValuB_X3_I0+4:vgprValuB_X3_I0+4+1], v[vgprLocalReadAddrB] offset:8800 // L -> Reg lro=96 swapByteOffset=0 ti=32 vIdx=2 rIdx=0 oIdx=0 buffer=3 iui=0
	;; [unrolled: 4-line block ×6, first 2 shown]
v_mfma_f32_16x16x32_bf8_bf8 a[168+0:171+0], v[vgprValuB_X0_I0+10+0+0:vgprValuB_X0_I0+10+0+0+1], v[vgprValuA_X0_I0+4+0+0:vgprValuA_X0_I0+4+0+0+1], a[168:171]
/*  mfmaIndex:46  */
/* localReadsVacancy: latencyLeft 2 */
v_mfma_f32_16x16x32_bf8_bf8 a[164+0:167+0], v[vgprValuB_X0_I0+10+0+0:vgprValuB_X0_I0+10+0+0+1], v[vgprValuA_X0_I0+2+0+0:vgprValuA_X0_I0+2+0+0+1], a[164:167]
/*  mfmaIndex:47  */
/* localReadsVacancy: latencyLeft 2 */
	;; [unrolled: 3-line block ×6, first 2 shown]
/* 1 LDS buffer: read-sync-write */
s_waitcnt lgkmcnt(0)                               // 
s_barrier                                          // 
v_mfma_f32_16x16x32_bf8_bf8 a[204+0:207+0], v[vgprValuB_X0_I0+12+0+0:vgprValuB_X0_I0+12+0+0+1], v[vgprValuA_X0_I0+6+0+0:vgprValuA_X0_I0+6+0+0+1], a[204:207]
/*  mfmaIndex:52  */
s_setprio 3                                        // store optimization
/* sched write - iter 0 writesPerItem=1 */
s_waitcnt vmcnt(0)                                 // lgkmcnt=-1 vmcnt=0wait for global read before writing to local
_ds_store_b32 v[vgprLocalWriteAddrA], v[vgprG2LA+0] offset:0 // lwoA_0_0_0_0 = (0*LSCA)*(MT0I+PAD) + (0*LSPA) = 0
v_mfma_f32_16x16x32_bf8_bf8 a[208+0:211+0], v[vgprValuB_X0_I0+12+0+0:vgprValuB_X0_I0+12+0+0+1], v[vgprValuA_X0_I0+8+0+0:vgprValuA_X0_I0+8+0+0+1], a[208:211]
/*  mfmaIndex:53  */
_buffer_load_b32 v[vgprG2LA+0], v[vgprGlobalReadOffsetA+0], s[sgprSrdA:sgprSrdA+3], 0, offen offset:0 // G -> Reg 0_0_0_0
v_mfma_f32_16x16x32_bf8_bf8 a[212+0:215+0], v[vgprValuB_X0_I0+12+0+0:vgprValuB_X0_I0+12+0+0+1], v[vgprValuA_X0_I0+10+0+0:vgprValuA_X0_I0+10+0+0+1], a[212:215]
/*  mfmaIndex:54  */
/* sched write - iter 0 writesPerItem=1 */
s_waitcnt vmcnt(0)                                 // lgkmcnt=-1 vmcnt=0wait for global read before writing to local
_ds_store_b32 v[vgprLocalWriteAddrA], v[vgprG2LA+1] offset:1032 // lwoA_0_0_1_0 = (0*LSCA)*(MT0I+PAD) + (1*LSPA) = 1032
v_mfma_f32_16x16x32_bf8_bf8 a[216+0:219+0], v[vgprValuB_X0_I0+12+0+0:vgprValuB_X0_I0+12+0+0+1], v[vgprValuA_X0_I0+12+0+0:vgprValuA_X0_I0+12+0+0+1], a[216:219]
/*  mfmaIndex:55  */
_buffer_load_b32 v[vgprG2LA+1], v[vgprGlobalReadOffsetA+1], s[sgprSrdA:sgprSrdA+3], 0, offen offset:0 // G -> Reg 0_0_1_0
v_mfma_f32_16x16x32_bf8_bf8 a[220+0:223+0], v[vgprValuB_X0_I0+12+0+0:vgprValuB_X0_I0+12+0+0+1], v[vgprValuA_X0_I0+14+0+0:vgprValuA_X0_I0+14+0+0+1], a[220:223]
/* numPrefetchIter=0 */
/* dataAtIterA=-1 numReadsIterA=1 skipReadsIterA=1 readsPerIterA=8 */
/* dataAtIterB=-1 numReadsIterB=1 skipReadsIterB=1 readsPerIterB=7 */


/* iter 1 */

/*  grEndMfmaIndex:18, lwStartMfmaIndex:52, lwEndMfmaIndex:198  */
/*  numMfmaForLR:20, barrierMfmaIndex:203, LocalWritePerMfma:0.405 */
/*  mfmaIndex:56  */
/* sched write - iter 1 writesPerItem=1 */
s_waitcnt vmcnt(0)                                 // lgkmcnt=-1 vmcnt=0wait for global read before writing to local
_ds_store_b32 v[vgprLocalWriteAddrA], v[vgprG2LA+2] offset:2064 // lwoA_0_0_2_0 = (0*LSCA)*(MT0I+PAD) + (2*LSPA) = 2064
v_mfma_f32_16x16x32_bf8_bf8 a[0+0:3+0], v[vgprValuB_X1_I0+0+0+0:vgprValuB_X1_I0+0+0+0+1], v[vgprValuA_X1_I0+0+0+0:vgprValuA_X1_I0+0+0+0+1], a[0:3]
/*  mfmaIndex:57  */
_buffer_load_b32 v[vgprG2LA+2], v[vgprGlobalReadOffsetA+2], s[sgprSrdA:sgprSrdA+3], 0, offen offset:0 // G -> Reg 0_0_2_0
v_mfma_f32_16x16x32_bf8_bf8 a[4+0:7+0], v[vgprValuB_X1_I0+0+0+0:vgprValuB_X1_I0+0+0+0+1], v[vgprValuA_X1_I0+2+0+0:vgprValuA_X1_I0+2+0+0+1], a[4:7]
/*  mfmaIndex:58  */
v_mfma_f32_16x16x32_bf8_bf8 a[8+0:11+0], v[vgprValuB_X1_I0+0+0+0:vgprValuB_X1_I0+0+0+0+1], v[vgprValuA_X1_I0+4+0+0:vgprValuA_X1_I0+4+0+0+1], a[8:11]
/*  mfmaIndex:59  */
/* sched write - iter 1 writesPerItem=1 */
s_waitcnt vmcnt(0)                                 // lgkmcnt=-1 vmcnt=0wait for global read before writing to local
_ds_store_b32 v[vgprLocalWriteAddrA], v[vgprG2LA+3] offset:3096 // lwoA_0_0_3_0 = (0*LSCA)*(MT0I+PAD) + (3*LSPA) = 3096
v_mfma_f32_16x16x32_bf8_bf8 a[12+0:15+0], v[vgprValuB_X1_I0+0+0+0:vgprValuB_X1_I0+0+0+0+1], v[vgprValuA_X1_I0+6+0+0:vgprValuA_X1_I0+6+0+0+1], a[12:15]
/*  mfmaIndex:60  */
_buffer_load_b32 v[vgprG2LA+3], v[vgprGlobalReadOffsetA+3], s[sgprSrdA:sgprSrdA+3], 0, offen offset:0 // G -> Reg 0_0_3_0
v_mfma_f32_16x16x32_bf8_bf8 a[16+0:19+0], v[vgprValuB_X1_I0+0+0+0:vgprValuB_X1_I0+0+0+0+1], v[vgprValuA_X1_I0+8+0+0:vgprValuA_X1_I0+8+0+0+1], a[16:19]
/*  mfmaIndex:61  */
/* sched write - iter 1 writesPerItem=1 */
s_waitcnt vmcnt(0)                                 // lgkmcnt=-1 vmcnt=0wait for global read before writing to local
_ds_store_b32 v[vgprLocalWriteAddrA], v[vgprG2LA+4] offset:4128 // lwoA_0_0_4_0 = (0*LSCA)*(MT0I+PAD) + (4*LSPA) = 4128
v_mfma_f32_16x16x32_bf8_bf8 a[20+0:23+0], v[vgprValuB_X1_I0+0+0+0:vgprValuB_X1_I0+0+0+0+1], v[vgprValuA_X1_I0+10+0+0:vgprValuA_X1_I0+10+0+0+1], a[20:23]
/*  mfmaIndex:62  */
_buffer_load_b32 v[vgprG2LA+4], v[vgprGlobalReadOffsetA+4], s[sgprSrdA:sgprSrdA+3], 0, offen offset:0 // G -> Reg 0_0_4_0
v_mfma_f32_16x16x32_bf8_bf8 a[24+0:27+0], v[vgprValuB_X1_I0+0+0+0:vgprValuB_X1_I0+0+0+0+1], v[vgprValuA_X1_I0+12+0+0:vgprValuA_X1_I0+12+0+0+1], a[24:27]
/*  mfmaIndex:63  */
v_mfma_f32_16x16x32_bf8_bf8 a[28+0:31+0], v[vgprValuB_X1_I0+0+0+0:vgprValuB_X1_I0+0+0+0+1], v[vgprValuA_X1_I0+14+0+0:vgprValuA_X1_I0+14+0+0+1], a[28:31]
/*  mfmaIndex:64  */
/* sched write - iter 1 writesPerItem=1 */
s_waitcnt vmcnt(0)                                 // lgkmcnt=-1 vmcnt=0wait for global read before writing to local
_ds_store_b32 v[vgprLocalWriteAddrA], v[vgprG2LA+5] offset:5160 // lwoA_0_0_5_0 = (0*LSCA)*(MT0I+PAD) + (5*LSPA) = 5160
v_mfma_f32_16x16x32_bf8_bf8 a[60+0:63+0], v[vgprValuB_X1_I0+2+0+0:vgprValuB_X1_I0+2+0+0+1], v[vgprValuA_X1_I0+14+0+0:vgprValuA_X1_I0+14+0+0+1], a[60:63]
/*  mfmaIndex:65  */
_buffer_load_b32 v[vgprG2LA+5], v[vgprGlobalReadOffsetA+5], s[sgprSrdA:sgprSrdA+3], 0, offen offset:0 // G -> Reg 0_0_5_0
v_mfma_f32_16x16x32_bf8_bf8 a[56+0:59+0], v[vgprValuB_X1_I0+2+0+0:vgprValuB_X1_I0+2+0+0+1], v[vgprValuA_X1_I0+12+0+0:vgprValuA_X1_I0+12+0+0+1], a[56:59]
/*  mfmaIndex:66  */
/* sched write - iter 1 writesPerItem=1 */
s_waitcnt vmcnt(0)                                 // lgkmcnt=-1 vmcnt=0wait for global read before writing to local
_ds_store_b32 v[vgprLocalWriteAddrA], v[vgprG2LA+6] offset:6192 // lwoA_0_0_6_0 = (0*LSCA)*(MT0I+PAD) + (6*LSPA) = 6192
v_mfma_f32_16x16x32_bf8_bf8 a[52+0:55+0], v[vgprValuB_X1_I0+2+0+0:vgprValuB_X1_I0+2+0+0+1], v[vgprValuA_X1_I0+10+0+0:vgprValuA_X1_I0+10+0+0+1], a[52:55]
/*  mfmaIndex:67  */
_buffer_load_b32 v[vgprG2LA+6], v[vgprGlobalReadOffsetA+6], s[sgprSrdA:sgprSrdA+3], 0, offen offset:0 // G -> Reg 0_0_6_0
v_mfma_f32_16x16x32_bf8_bf8 a[48+0:51+0], v[vgprValuB_X1_I0+2+0+0:vgprValuB_X1_I0+2+0+0+1], v[vgprValuA_X1_I0+8+0+0:vgprValuA_X1_I0+8+0+0+1], a[48:51]
/*  mfmaIndex:68  */
v_mfma_f32_16x16x32_bf8_bf8 a[44+0:47+0], v[vgprValuB_X1_I0+2+0+0:vgprValuB_X1_I0+2+0+0+1], v[vgprValuA_X1_I0+6+0+0:vgprValuA_X1_I0+6+0+0+1], a[44:47]
/*  mfmaIndex:69  */
/* sched write - iter 1 writesPerItem=1 */
s_waitcnt vmcnt(0)                                 // lgkmcnt=-1 vmcnt=0wait for global read before writing to local
_ds_store_b32 v[vgprLocalWriteAddrA], v[vgprG2LA+7] offset:7224 // lwoA_0_0_7_0 = (0*LSCA)*(MT0I+PAD) + (7*LSPA) = 7224
v_mfma_f32_16x16x32_bf8_bf8 a[40+0:43+0], v[vgprValuB_X1_I0+2+0+0:vgprValuB_X1_I0+2+0+0+1], v[vgprValuA_X1_I0+4+0+0:vgprValuA_X1_I0+4+0+0+1], a[40:43]
/*  mfmaIndex:70  */
_buffer_load_b32 v[vgprG2LA+7], v[vgprGlobalReadOffsetA+7], s[sgprSrdA:sgprSrdA+3], 0, offen offset:0 // G -> Reg 0_0_7_0
v_mfma_f32_16x16x32_bf8_bf8 a[36+0:39+0], v[vgprValuB_X1_I0+2+0+0:vgprValuB_X1_I0+2+0+0+1], v[vgprValuA_X1_I0+2+0+0:vgprValuA_X1_I0+2+0+0+1], a[36:39]
/*  mfmaIndex:71  */
/* sched write - iter 1 writesPerItem=1 */
s_waitcnt vmcnt(0)                                 // lgkmcnt=-1 vmcnt=0wait for global read before writing to local
_ds_store_b32 v[vgprLocalWriteAddrA], v[vgprG2LA+8] offset:8256 // lwoA_0_0_8_0 = (0*LSCA)*(MT0I+PAD) + (8*LSPA) = 8256
v_mfma_f32_16x16x32_bf8_bf8 a[32+0:35+0], v[vgprValuB_X1_I0+2+0+0:vgprValuB_X1_I0+2+0+0+1], v[vgprValuA_X1_I0+0+0+0:vgprValuA_X1_I0+0+0+0+1], a[32:35]
/*  mfmaIndex:72  */
_buffer_load_b32 v[vgprG2LA+8], v[vgprGlobalReadOffsetA+8], s[sgprSrdA:sgprSrdA+3], 0, offen offset:0 // G -> Reg 0_0_8_0
v_mfma_f32_16x16x32_bf8_bf8 a[64+0:67+0], v[vgprValuB_X1_I0+4+0+0:vgprValuB_X1_I0+4+0+0+1], v[vgprValuA_X1_I0+0+0+0:vgprValuA_X1_I0+0+0+0+1], a[64:67]
/*  mfmaIndex:73  */
v_mfma_f32_16x16x32_bf8_bf8 a[68+0:71+0], v[vgprValuB_X1_I0+4+0+0:vgprValuB_X1_I0+4+0+0+1], v[vgprValuA_X1_I0+2+0+0:vgprValuA_X1_I0+2+0+0+1], a[68:71]
/*  mfmaIndex:74  */
/* sched write - iter 1 writesPerItem=1 */
s_waitcnt vmcnt(0)                                 // lgkmcnt=-1 vmcnt=0wait for global read before writing to local
_ds_store_b32 v[vgprLocalWriteAddrA], v[vgprG2LA+9] offset:9288 // lwoA_0_0_9_0 = (0*LSCA)*(MT0I+PAD) + (9*LSPA) = 9288
v_mfma_f32_16x16x32_bf8_bf8 a[72+0:75+0], v[vgprValuB_X1_I0+4+0+0:vgprValuB_X1_I0+4+0+0+1], v[vgprValuA_X1_I0+4+0+0:vgprValuA_X1_I0+4+0+0+1], a[72:75]
/*  mfmaIndex:75  */
_buffer_load_b32 v[vgprG2LA+9], v[vgprGlobalReadOffsetA+9], s[sgprSrdA:sgprSrdA+3], 0, offen offset:0 // G -> Reg 0_0_9_0
v_mfma_f32_16x16x32_bf8_bf8 a[76+0:79+0], v[vgprValuB_X1_I0+4+0+0:vgprValuB_X1_I0+4+0+0+1], v[vgprValuA_X1_I0+6+0+0:vgprValuA_X1_I0+6+0+0+1], a[76:79]
/*  mfmaIndex:76  */
/* sched write - iter 1 writesPerItem=1 */
s_waitcnt vmcnt(0)                                 // lgkmcnt=-1 vmcnt=0wait for global read before writing to local
_ds_store_b32 v[vgprLocalWriteAddrA], v[vgprG2LA+10] offset:10320 // lwoA_0_0_10_0 = (0*LSCA)*(MT0I+PAD) + (10*LSPA) = 10320
v_mfma_f32_16x16x32_bf8_bf8 a[80+0:83+0], v[vgprValuB_X1_I0+4+0+0:vgprValuB_X1_I0+4+0+0+1], v[vgprValuA_X1_I0+8+0+0:vgprValuA_X1_I0+8+0+0+1], a[80:83]
/*  mfmaIndex:77  */
_buffer_load_b32 v[vgprG2LA+10], v[vgprGlobalReadOffsetA+10], s[sgprSrdA:sgprSrdA+3], 0, offen offset:0 // G -> Reg 0_0_10_0
v_mfma_f32_16x16x32_bf8_bf8 a[84+0:87+0], v[vgprValuB_X1_I0+4+0+0:vgprValuB_X1_I0+4+0+0+1], v[vgprValuA_X1_I0+10+0+0:vgprValuA_X1_I0+10+0+0+1], a[84:87]
/*  mfmaIndex:78  */
v_mfma_f32_16x16x32_bf8_bf8 a[88+0:91+0], v[vgprValuB_X1_I0+4+0+0:vgprValuB_X1_I0+4+0+0+1], v[vgprValuA_X1_I0+12+0+0:vgprValuA_X1_I0+12+0+0+1], a[88:91]
/*  mfmaIndex:79  */
/* sched write - iter 1 writesPerItem=1 */
s_waitcnt vmcnt(0)                                 // lgkmcnt=-1 vmcnt=0wait for global read before writing to local
_ds_store_b32 v[vgprLocalWriteAddrA], v[vgprG2LA+11] offset:11352 // lwoA_0_0_11_0 = (0*LSCA)*(MT0I+PAD) + (11*LSPA) = 11352
v_mfma_f32_16x16x32_bf8_bf8 a[92+0:95+0], v[vgprValuB_X1_I0+4+0+0:vgprValuB_X1_I0+4+0+0+1], v[vgprValuA_X1_I0+14+0+0:vgprValuA_X1_I0+14+0+0+1], a[92:95]
/*  mfmaIndex:80  */
_buffer_load_b32 v[vgprG2LA+11], v[vgprGlobalReadOffsetA+11], s[sgprSrdA:sgprSrdA+3], 0, offen offset:0 // G -> Reg 0_0_11_0
v_mfma_f32_16x16x32_bf8_bf8 a[124+0:127+0], v[vgprValuB_X1_I0+6+0+0:vgprValuB_X1_I0+6+0+0+1], v[vgprValuA_X1_I0+14+0+0:vgprValuA_X1_I0+14+0+0+1], a[124:127]
/*  mfmaIndex:81  */
/* sched write - iter 1 writesPerItem=1 */
s_waitcnt vmcnt(0)                                 // lgkmcnt=-1 vmcnt=0wait for global read before writing to local
_ds_store_b32 v[vgprLocalWriteAddrA], v[vgprG2LA+12] offset:12384 // lwoA_0_0_12_0 = (0*LSCA)*(MT0I+PAD) + (12*LSPA) = 12384
v_mfma_f32_16x16x32_bf8_bf8 a[120+0:123+0], v[vgprValuB_X1_I0+6+0+0:vgprValuB_X1_I0+6+0+0+1], v[vgprValuA_X1_I0+12+0+0:vgprValuA_X1_I0+12+0+0+1], a[120:123]
/*  mfmaIndex:82  */
_buffer_load_b32 v[vgprG2LA+12], v[vgprGlobalReadOffsetA+12], s[sgprSrdA:sgprSrdA+3], 0, offen offset:0 // G -> Reg 0_0_12_0
v_mfma_f32_16x16x32_bf8_bf8 a[116+0:119+0], v[vgprValuB_X1_I0+6+0+0:vgprValuB_X1_I0+6+0+0+1], v[vgprValuA_X1_I0+10+0+0:vgprValuA_X1_I0+10+0+0+1], a[116:119]
/*  mfmaIndex:83  */
v_mfma_f32_16x16x32_bf8_bf8 a[112+0:115+0], v[vgprValuB_X1_I0+6+0+0:vgprValuB_X1_I0+6+0+0+1], v[vgprValuA_X1_I0+8+0+0:vgprValuA_X1_I0+8+0+0+1], a[112:115]
/*  mfmaIndex:84  */
/* sched write - iter 1 writesPerItem=1 */
s_waitcnt vmcnt(0)                                 // lgkmcnt=-1 vmcnt=0wait for global read before writing to local
_ds_store_b32 v[vgprLocalWriteAddrA], v[vgprG2LA+13] offset:13416 // lwoA_0_0_13_0 = (0*LSCA)*(MT0I+PAD) + (13*LSPA) = 13416
v_mfma_f32_16x16x32_bf8_bf8 a[108+0:111+0], v[vgprValuB_X1_I0+6+0+0:vgprValuB_X1_I0+6+0+0+1], v[vgprValuA_X1_I0+6+0+0:vgprValuA_X1_I0+6+0+0+1], a[108:111]
/*  mfmaIndex:85  */
_buffer_load_b32 v[vgprG2LA+13], v[vgprGlobalReadOffsetA+13], s[sgprSrdA:sgprSrdA+3], 0, offen offset:0 // G -> Reg 0_0_13_0
v_mfma_f32_16x16x32_bf8_bf8 a[104+0:107+0], v[vgprValuB_X1_I0+6+0+0:vgprValuB_X1_I0+6+0+0+1], v[vgprValuA_X1_I0+4+0+0:vgprValuA_X1_I0+4+0+0+1], a[104:107]
/*  mfmaIndex:86  */
/* sched write - iter 1 writesPerItem=1 */
s_waitcnt vmcnt(0)                                 // lgkmcnt=-1 vmcnt=0wait for global read before writing to local
_ds_store_b32 v[vgprLocalWriteAddrA], v[vgprG2LA+14] offset:14448 // lwoA_0_0_14_0 = (0*LSCA)*(MT0I+PAD) + (14*LSPA) = 14448
v_mfma_f32_16x16x32_bf8_bf8 a[100+0:103+0], v[vgprValuB_X1_I0+6+0+0:vgprValuB_X1_I0+6+0+0+1], v[vgprValuA_X1_I0+2+0+0:vgprValuA_X1_I0+2+0+0+1], a[100:103]
/*  mfmaIndex:87  */
_buffer_load_b32 v[vgprG2LA+14], v[vgprGlobalReadOffsetA+14], s[sgprSrdA:sgprSrdA+3], 0, offen offset:0 // G -> Reg 0_0_14_0
v_mfma_f32_16x16x32_bf8_bf8 a[96+0:99+0], v[vgprValuB_X1_I0+6+0+0:vgprValuB_X1_I0+6+0+0+1], v[vgprValuA_X1_I0+0+0+0:vgprValuA_X1_I0+0+0+0+1], a[96:99]
/*  mfmaIndex:88  */
v_mfma_f32_16x16x32_bf8_bf8 a[128+0:131+0], v[vgprValuB_X1_I0+8+0+0:vgprValuB_X1_I0+8+0+0+1], v[vgprValuA_X1_I0+0+0+0:vgprValuA_X1_I0+0+0+0+1], a[128:131]
/*  mfmaIndex:89  */
/* sched write - iter 1 writesPerItem=1 */
s_waitcnt vmcnt(0)                                 // lgkmcnt=-1 vmcnt=0wait for global read before writing to local
_ds_store_b32 v[vgprLocalWriteAddrA], v[vgprG2LA+15] offset:15480 // lwoA_0_0_15_0 = (0*LSCA)*(MT0I+PAD) + (15*LSPA) = 15480
v_mfma_f32_16x16x32_bf8_bf8 a[132+0:135+0], v[vgprValuB_X1_I0+8+0+0:vgprValuB_X1_I0+8+0+0+1], v[vgprValuA_X1_I0+2+0+0:vgprValuA_X1_I0+2+0+0+1], a[132:135]
/*  mfmaIndex:90  */
_buffer_load_b32 v[vgprG2LA+15], v[vgprGlobalReadOffsetA+15], s[sgprSrdA:sgprSrdA+3], 0, offen offset:0 // G -> Reg 0_0_15_0
v_mfma_f32_16x16x32_bf8_bf8 a[136+0:139+0], v[vgprValuB_X1_I0+8+0+0:vgprValuB_X1_I0+8+0+0+1], v[vgprValuA_X1_I0+4+0+0:vgprValuA_X1_I0+4+0+0+1], a[136:139]
/*  mfmaIndex:91  */
/* sched write - iter 1 writesPerItem=1 */
s_waitcnt vmcnt(0)                                 // lgkmcnt=-1 vmcnt=0wait for global read before writing to local
_ds_store_b32 v[vgprLocalWriteAddrA], v[vgprG2LA+16] offset:16512 // lwoA_0_0_16_0 = (0*LSCA)*(MT0I+PAD) + (16*LSPA) = 16512
v_mfma_f32_16x16x32_bf8_bf8 a[140+0:143+0], v[vgprValuB_X1_I0+8+0+0:vgprValuB_X1_I0+8+0+0+1], v[vgprValuA_X1_I0+6+0+0:vgprValuA_X1_I0+6+0+0+1], a[140:143]
/*  mfmaIndex:92  */
_buffer_load_b32 v[vgprG2LA+16], v[vgprGlobalReadOffsetA+16], s[sgprSrdA:sgprSrdA+3], 0, offen offset:0 // G -> Reg 0_0_16_0
v_mfma_f32_16x16x32_bf8_bf8 a[144+0:147+0], v[vgprValuB_X1_I0+8+0+0:vgprValuB_X1_I0+8+0+0+1], v[vgprValuA_X1_I0+8+0+0:vgprValuA_X1_I0+8+0+0+1], a[144:147]
/*  mfmaIndex:93  */
/* sched write - iter 1 writesPerItem=1 */
s_waitcnt vmcnt(0)                                 // lgkmcnt=-1 vmcnt=0wait for global read before writing to local
_ds_store_b32 v[vgprLocalWriteAddrA], v[vgprG2LA+17] offset:17544 // lwoA_0_0_17_0 = (0*LSCA)*(MT0I+PAD) + (17*LSPA) = 17544
v_mfma_f32_16x16x32_bf8_bf8 a[148+0:151+0], v[vgprValuB_X1_I0+8+0+0:vgprValuB_X1_I0+8+0+0+1], v[vgprValuA_X1_I0+10+0+0:vgprValuA_X1_I0+10+0+0+1], a[148:151]
/*  mfmaIndex:94  */
_buffer_load_b32 v[vgprG2LA+17], v[vgprGlobalReadOffsetA+17], s[sgprSrdA:sgprSrdA+3], 0, offen offset:0 // G -> Reg 0_0_17_0
v_mfma_f32_16x16x32_bf8_bf8 a[152+0:155+0], v[vgprValuB_X1_I0+8+0+0:vgprValuB_X1_I0+8+0+0+1], v[vgprValuA_X1_I0+12+0+0:vgprValuA_X1_I0+12+0+0+1], a[152:155]
/*  mfmaIndex:95  */
v_mfma_f32_16x16x32_bf8_bf8 a[156+0:159+0], v[vgprValuB_X1_I0+8+0+0:vgprValuB_X1_I0+8+0+0+1], v[vgprValuA_X1_I0+14+0+0:vgprValuA_X1_I0+14+0+0+1], a[156:159]
/*  mfmaIndex:96  */
/* sched write - iter 1 writesPerItem=1 */
s_waitcnt vmcnt(0)                                 // lgkmcnt=-1 vmcnt=0wait for global read before writing to local
_ds_store_b32 v[vgprLocalWriteAddrA], v[vgprG2LA+18] offset:18576 // lwoA_0_0_18_0 = (0*LSCA)*(MT0I+PAD) + (18*LSPA) = 18576
v_mfma_f32_16x16x32_bf8_bf8 a[188+0:191+0], v[vgprValuB_X1_I0+10+0+0:vgprValuB_X1_I0+10+0+0+1], v[vgprValuA_X1_I0+14+0+0:vgprValuA_X1_I0+14+0+0+1], a[188:191]
/*  mfmaIndex:97  */
_buffer_load_b32 v[vgprG2LA+18], v[vgprGlobalReadOffsetA+18], s[sgprSrdA:sgprSrdA+3], 0, offen offset:0 // G -> Reg 0_0_18_0
v_mfma_f32_16x16x32_bf8_bf8 a[184+0:187+0], v[vgprValuB_X1_I0+10+0+0:vgprValuB_X1_I0+10+0+0+1], v[vgprValuA_X1_I0+12+0+0:vgprValuA_X1_I0+12+0+0+1], a[184:187]
/*  mfmaIndex:98  */
/* sched write - iter 1 writesPerItem=1 */
s_waitcnt vmcnt(0)                                 // lgkmcnt=-1 vmcnt=0wait for global read before writing to local
_ds_store_b32 v[vgprLocalWriteAddrA], v[vgprG2LA+19] offset:19608 // lwoA_0_0_19_0 = (0*LSCA)*(MT0I+PAD) + (19*LSPA) = 19608
v_mfma_f32_16x16x32_bf8_bf8 a[180+0:183+0], v[vgprValuB_X1_I0+10+0+0:vgprValuB_X1_I0+10+0+0+1], v[vgprValuA_X1_I0+10+0+0:vgprValuA_X1_I0+10+0+0+1], a[180:183]
/*  mfmaIndex:99  */
_buffer_load_b32 v[vgprG2LA+19], v[vgprGlobalReadOffsetA+19], s[sgprSrdA:sgprSrdA+3], 0, offen offset:0 // G -> Reg 0_0_19_0
v_mfma_f32_16x16x32_bf8_bf8 a[176+0:179+0], v[vgprValuB_X1_I0+10+0+0:vgprValuB_X1_I0+10+0+0+1], v[vgprValuA_X1_I0+8+0+0:vgprValuA_X1_I0+8+0+0+1], a[176:179]
/*  mfmaIndex:100  */
v_mfma_f32_16x16x32_bf8_bf8 a[172+0:175+0], v[vgprValuB_X1_I0+10+0+0:vgprValuB_X1_I0+10+0+0+1], v[vgprValuA_X1_I0+6+0+0:vgprValuA_X1_I0+6+0+0+1], a[172:175]
/*  mfmaIndex:101  */
/* sched write - iter 1 writesPerItem=1 */
s_waitcnt vmcnt(0)                                 // lgkmcnt=-1 vmcnt=0wait for global read before writing to local
_ds_store_b32 v[vgprLocalWriteAddrA], v[vgprG2LA+20] offset:20640 // lwoA_0_0_20_0 = (0*LSCA)*(MT0I+PAD) + (20*LSPA) = 20640
v_mfma_f32_16x16x32_bf8_bf8 a[168+0:171+0], v[vgprValuB_X1_I0+10+0+0:vgprValuB_X1_I0+10+0+0+1], v[vgprValuA_X1_I0+4+0+0:vgprValuA_X1_I0+4+0+0+1], a[168:171]
/*  mfmaIndex:102  */
_buffer_load_b32 v[vgprG2LA+20], v[vgprGlobalReadOffsetA+20], s[sgprSrdA:sgprSrdA+3], 0, offen offset:0 // G -> Reg 0_0_20_0
v_mfma_f32_16x16x32_bf8_bf8 a[164+0:167+0], v[vgprValuB_X1_I0+10+0+0:vgprValuB_X1_I0+10+0+0+1], v[vgprValuA_X1_I0+2+0+0:vgprValuA_X1_I0+2+0+0+1], a[164:167]
/*  mfmaIndex:103  */
/* sched write - iter 1 writesPerItem=1 */
s_waitcnt vmcnt(0)                                 // lgkmcnt=-1 vmcnt=0wait for global read before writing to local
_ds_store_b32 v[vgprLocalWriteAddrA], v[vgprG2LA+21] offset:21672 // lwoA_0_0_21_0 = (0*LSCA)*(MT0I+PAD) + (21*LSPA) = 21672
v_mfma_f32_16x16x32_bf8_bf8 a[160+0:163+0], v[vgprValuB_X1_I0+10+0+0:vgprValuB_X1_I0+10+0+0+1], v[vgprValuA_X1_I0+0+0+0:vgprValuA_X1_I0+0+0+0+1], a[160:163]
/*  mfmaIndex:104  */
_buffer_load_b32 v[vgprG2LA+21], v[vgprGlobalReadOffsetA+21], s[sgprSrdA:sgprSrdA+3], 0, offen offset:0 // G -> Reg 0_0_21_0
v_mfma_f32_16x16x32_bf8_bf8 a[192+0:195+0], v[vgprValuB_X1_I0+12+0+0:vgprValuB_X1_I0+12+0+0+1], v[vgprValuA_X1_I0+0+0+0:vgprValuA_X1_I0+0+0+0+1], a[192:195]
/*  mfmaIndex:105  */
v_mfma_f32_16x16x32_bf8_bf8 a[196+0:199+0], v[vgprValuB_X1_I0+12+0+0:vgprValuB_X1_I0+12+0+0+1], v[vgprValuA_X1_I0+2+0+0:vgprValuA_X1_I0+2+0+0+1], a[196:199]
/*  mfmaIndex:106  */
/* sched write - iter 1 writesPerItem=1 */
s_waitcnt vmcnt(0)                                 // lgkmcnt=-1 vmcnt=0wait for global read before writing to local
_ds_store_b32 v[vgprLocalWriteAddrA], v[vgprG2LA+22] offset:22704 // lwoA_0_0_22_0 = (0*LSCA)*(MT0I+PAD) + (22*LSPA) = 22704
v_mfma_f32_16x16x32_bf8_bf8 a[200+0:203+0], v[vgprValuB_X1_I0+12+0+0:vgprValuB_X1_I0+12+0+0+1], v[vgprValuA_X1_I0+4+0+0:vgprValuA_X1_I0+4+0+0+1], a[200:203]
/*  mfmaIndex:107  */
_buffer_load_b32 v[vgprG2LA+22], v[vgprGlobalReadOffsetA+22], s[sgprSrdA:sgprSrdA+3], 0, offen offset:0 // G -> Reg 0_0_22_0
v_mfma_f32_16x16x32_bf8_bf8 a[204+0:207+0], v[vgprValuB_X1_I0+12+0+0:vgprValuB_X1_I0+12+0+0+1], v[vgprValuA_X1_I0+6+0+0:vgprValuA_X1_I0+6+0+0+1], a[204:207]
/*  mfmaIndex:108  */
/* sched write - iter 1 writesPerItem=1 */
s_waitcnt vmcnt(0)                                 // lgkmcnt=-1 vmcnt=0wait for global read before writing to local
_ds_store_b32 v[vgprLocalWriteAddrA], v[vgprG2LA+23] offset:23736 // lwoA_0_0_23_0 = (0*LSCA)*(MT0I+PAD) + (23*LSPA) = 23736
v_mfma_f32_16x16x32_bf8_bf8 a[208+0:211+0], v[vgprValuB_X1_I0+12+0+0:vgprValuB_X1_I0+12+0+0+1], v[vgprValuA_X1_I0+8+0+0:vgprValuA_X1_I0+8+0+0+1], a[208:211]
/*  mfmaIndex:109  */
_buffer_load_b32 v[vgprG2LA+23], v[vgprGlobalReadOffsetA+23], s[sgprSrdA:sgprSrdA+3], 0, offen offset:0 // G -> Reg 0_0_23_0
v_mfma_f32_16x16x32_bf8_bf8 a[212+0:215+0], v[vgprValuB_X1_I0+12+0+0:vgprValuB_X1_I0+12+0+0+1], v[vgprValuA_X1_I0+10+0+0:vgprValuA_X1_I0+10+0+0+1], a[212:215]
/*  mfmaIndex:110  */
v_mfma_f32_16x16x32_bf8_bf8 a[216+0:219+0], v[vgprValuB_X1_I0+12+0+0:vgprValuB_X1_I0+12+0+0+1], v[vgprValuA_X1_I0+12+0+0:vgprValuA_X1_I0+12+0+0+1], a[216:219]
/*  mfmaIndex:111  */
/* sched write - iter 1 writesPerItem=1 */
s_waitcnt vmcnt(0)                                 // lgkmcnt=-1 vmcnt=0wait for global read before writing to local
_ds_store_b32 v[vgprLocalWriteAddrA], v[vgprG2LA+24] offset:24768 // lwoA_0_0_24_0 = (0*LSCA)*(MT0I+PAD) + (24*LSPA) = 24768
v_mfma_f32_16x16x32_bf8_bf8 a[220+0:223+0], v[vgprValuB_X1_I0+12+0+0:vgprValuB_X1_I0+12+0+0+1], v[vgprValuA_X1_I0+14+0+0:vgprValuA_X1_I0+14+0+0+1], a[220:223]


/* iter 2 (reset local read pointers iteration)  (swap local read pointers iteration)  */

/*  grEndMfmaIndex:18, lwStartMfmaIndex:52, lwEndMfmaIndex:198  */
/*  numMfmaForLR:20, barrierMfmaIndex:203, LocalWritePerMfma:0.405 */
/*  mfmaIndex:112  */
_buffer_load_b32 v[vgprG2LA+24], v[vgprGlobalReadOffsetA+24], s[sgprSrdA:sgprSrdA+3], 0, offen offset:0 // G -> Reg 0_0_24_0
v_mfma_f32_16x16x32_bf8_bf8 a[0+0:3+0], v[vgprValuB_X2_I0+0+0+0:vgprValuB_X2_I0+0+0+0+1], v[vgprValuA_X2_I0+0+0+0:vgprValuA_X2_I0+0+0+0+1], a[0:3]
/*  mfmaIndex:113  */
/* sched write - iter 2 writesPerItem=1 */
s_waitcnt vmcnt(0)                                 // lgkmcnt=-1 vmcnt=0wait for global read before writing to local
_ds_store_b32 v[vgprLocalWriteAddrA], v[vgprG2LA+25] offset:25800 // lwoA_0_0_25_0 = (0*LSCA)*(MT0I+PAD) + (25*LSPA) = 25800
v_mfma_f32_16x16x32_bf8_bf8 a[4+0:7+0], v[vgprValuB_X2_I0+0+0+0:vgprValuB_X2_I0+0+0+0+1], v[vgprValuA_X2_I0+2+0+0:vgprValuA_X2_I0+2+0+0+1], a[4:7]
/*  mfmaIndex:114  */
_buffer_load_b32 v[vgprG2LA+25], v[vgprGlobalReadOffsetA+25], s[sgprSrdA:sgprSrdA+3], 0, offen offset:0 // G -> Reg 0_0_25_0
v_mfma_f32_16x16x32_bf8_bf8 a[8+0:11+0], v[vgprValuB_X2_I0+0+0+0:vgprValuB_X2_I0+0+0+0+1], v[vgprValuA_X2_I0+4+0+0:vgprValuA_X2_I0+4+0+0+1], a[8:11]
/*  mfmaIndex:115  */
v_mfma_f32_16x16x32_bf8_bf8 a[12+0:15+0], v[vgprValuB_X2_I0+0+0+0:vgprValuB_X2_I0+0+0+0+1], v[vgprValuA_X2_I0+6+0+0:vgprValuA_X2_I0+6+0+0+1], a[12:15]
/*  mfmaIndex:116  */
/* sched write - iter 2 writesPerItem=1 */
s_waitcnt vmcnt(0)                                 // lgkmcnt=-1 vmcnt=0wait for global read before writing to local
_ds_store_b32 v[vgprLocalWriteAddrA], v[vgprG2LA+26] offset:26832 // lwoA_0_0_26_0 = (0*LSCA)*(MT0I+PAD) + (26*LSPA) = 26832
v_mfma_f32_16x16x32_bf8_bf8 a[16+0:19+0], v[vgprValuB_X2_I0+0+0+0:vgprValuB_X2_I0+0+0+0+1], v[vgprValuA_X2_I0+8+0+0:vgprValuA_X2_I0+8+0+0+1], a[16:19]
/*  mfmaIndex:117  */
_buffer_load_b32 v[vgprG2LA+26], v[vgprGlobalReadOffsetA+26], s[sgprSrdA:sgprSrdA+3], 0, offen offset:0 // G -> Reg 0_0_26_0
v_mfma_f32_16x16x32_bf8_bf8 a[20+0:23+0], v[vgprValuB_X2_I0+0+0+0:vgprValuB_X2_I0+0+0+0+1], v[vgprValuA_X2_I0+10+0+0:vgprValuA_X2_I0+10+0+0+1], a[20:23]
/*  mfmaIndex:118  */
/* sched write - iter 2 writesPerItem=1 */
s_waitcnt vmcnt(0)                                 // lgkmcnt=-1 vmcnt=0wait for global read before writing to local
_ds_store_b32 v[vgprLocalWriteAddrA], v[vgprG2LA+27] offset:27864 // lwoA_0_0_27_0 = (0*LSCA)*(MT0I+PAD) + (27*LSPA) = 27864
v_mfma_f32_16x16x32_bf8_bf8 a[24+0:27+0], v[vgprValuB_X2_I0+0+0+0:vgprValuB_X2_I0+0+0+0+1], v[vgprValuA_X2_I0+12+0+0:vgprValuA_X2_I0+12+0+0+1], a[24:27]
/*  mfmaIndex:119  */
_buffer_load_b32 v[vgprG2LA+27], v[vgprGlobalReadOffsetA+27], s[sgprSrdA:sgprSrdA+3], 0, offen offset:0 // G -> Reg 0_0_27_0
v_mfma_f32_16x16x32_bf8_bf8 a[28+0:31+0], v[vgprValuB_X2_I0+0+0+0:vgprValuB_X2_I0+0+0+0+1], v[vgprValuA_X2_I0+14+0+0:vgprValuA_X2_I0+14+0+0+1], a[28:31]
/*  mfmaIndex:120  */
v_mfma_f32_16x16x32_bf8_bf8 a[60+0:63+0], v[vgprValuB_X2_I0+2+0+0:vgprValuB_X2_I0+2+0+0+1], v[vgprValuA_X2_I0+14+0+0:vgprValuA_X2_I0+14+0+0+1], a[60:63]
/*  mfmaIndex:121  */
/* sched write - iter 2 writesPerItem=1 */
s_waitcnt vmcnt(0)                                 // lgkmcnt=-1 vmcnt=0wait for global read before writing to local
_ds_store_b32 v[vgprLocalWriteAddrA], v[vgprG2LA+28] offset:28896 // lwoA_0_0_28_0 = (0*LSCA)*(MT0I+PAD) + (28*LSPA) = 28896
v_mfma_f32_16x16x32_bf8_bf8 a[56+0:59+0], v[vgprValuB_X2_I0+2+0+0:vgprValuB_X2_I0+2+0+0+1], v[vgprValuA_X2_I0+12+0+0:vgprValuA_X2_I0+12+0+0+1], a[56:59]
/*  mfmaIndex:122  */
_buffer_load_b32 v[vgprG2LA+28], v[vgprGlobalReadOffsetA+28], s[sgprSrdA:sgprSrdA+3], 0, offen offset:0 // G -> Reg 0_0_28_0
v_mfma_f32_16x16x32_bf8_bf8 a[52+0:55+0], v[vgprValuB_X2_I0+2+0+0:vgprValuB_X2_I0+2+0+0+1], v[vgprValuA_X2_I0+10+0+0:vgprValuA_X2_I0+10+0+0+1], a[52:55]
/*  mfmaIndex:123  */
/* sched write - iter 2 writesPerItem=1 */
s_waitcnt vmcnt(0)                                 // lgkmcnt=-1 vmcnt=0wait for global read before writing to local
_ds_store_b32 v[vgprLocalWriteAddrA], v[vgprG2LA+29] offset:29928 // lwoA_0_0_29_0 = (0*LSCA)*(MT0I+PAD) + (29*LSPA) = 29928
v_mfma_f32_16x16x32_bf8_bf8 a[48+0:51+0], v[vgprValuB_X2_I0+2+0+0:vgprValuB_X2_I0+2+0+0+1], v[vgprValuA_X2_I0+8+0+0:vgprValuA_X2_I0+8+0+0+1], a[48:51]
/*  mfmaIndex:124  */
_buffer_load_b32 v[vgprG2LA+29], v[vgprGlobalReadOffsetA+29], s[sgprSrdA:sgprSrdA+3], 0, offen offset:0 // G -> Reg 0_0_29_0
v_mfma_f32_16x16x32_bf8_bf8 a[44+0:47+0], v[vgprValuB_X2_I0+2+0+0:vgprValuB_X2_I0+2+0+0+1], v[vgprValuA_X2_I0+6+0+0:vgprValuA_X2_I0+6+0+0+1], a[44:47]
/*  mfmaIndex:125  */
v_mfma_f32_16x16x32_bf8_bf8 a[40+0:43+0], v[vgprValuB_X2_I0+2+0+0:vgprValuB_X2_I0+2+0+0+1], v[vgprValuA_X2_I0+4+0+0:vgprValuA_X2_I0+4+0+0+1], a[40:43]
/*  mfmaIndex:126  */
/* sched write - iter 2 writesPerItem=1 */
s_waitcnt vmcnt(0)                                 // lgkmcnt=-1 vmcnt=0wait for global read before writing to local
_ds_store_b32 v[vgprLocalWriteAddrA], v[vgprG2LA+30] offset:30960 // lwoA_0_0_30_0 = (0*LSCA)*(MT0I+PAD) + (30*LSPA) = 30960
v_mfma_f32_16x16x32_bf8_bf8 a[36+0:39+0], v[vgprValuB_X2_I0+2+0+0:vgprValuB_X2_I0+2+0+0+1], v[vgprValuA_X2_I0+2+0+0:vgprValuA_X2_I0+2+0+0+1], a[36:39]
/*  mfmaIndex:127  */
_buffer_load_b32 v[vgprG2LA+30], v[vgprGlobalReadOffsetA+30], s[sgprSrdA:sgprSrdA+3], 0, offen offset:0 // G -> Reg 0_0_30_0
v_mfma_f32_16x16x32_bf8_bf8 a[32+0:35+0], v[vgprValuB_X2_I0+2+0+0:vgprValuB_X2_I0+2+0+0+1], v[vgprValuA_X2_I0+0+0+0:vgprValuA_X2_I0+0+0+0+1], a[32:35]
/*  mfmaIndex:128  */
/* sched write - iter 2 writesPerItem=1 */
s_waitcnt vmcnt(0)                                 // lgkmcnt=-1 vmcnt=0wait for global read before writing to local
_ds_store_b32 v[vgprLocalWriteAddrA], v[vgprG2LA+31] offset:31992 // lwoA_0_0_31_0 = (0*LSCA)*(MT0I+PAD) + (31*LSPA) = 31992
v_mfma_f32_16x16x32_bf8_bf8 a[64+0:67+0], v[vgprValuB_X2_I0+4+0+0:vgprValuB_X2_I0+4+0+0+1], v[vgprValuA_X2_I0+0+0+0:vgprValuA_X2_I0+0+0+0+1], a[64:67]
/*  mfmaIndex:129  */
_buffer_load_b32 v[vgprG2LA+31], v[vgprGlobalReadOffsetA+31], s[sgprSrdA:sgprSrdA+3], 0, offen offset:0 // G -> Reg 0_0_31_0
v_mfma_f32_16x16x32_bf8_bf8 a[68+0:71+0], v[vgprValuB_X2_I0+4+0+0:vgprValuB_X2_I0+4+0+0+1], v[vgprValuA_X2_I0+2+0+0:vgprValuA_X2_I0+2+0+0+1], a[68:71]
/*  mfmaIndex:130  */
v_mfma_f32_16x16x32_bf8_bf8 a[72+0:75+0], v[vgprValuB_X2_I0+4+0+0:vgprValuB_X2_I0+4+0+0+1], v[vgprValuA_X2_I0+4+0+0:vgprValuA_X2_I0+4+0+0+1], a[72:75]
/*  mfmaIndex:131  */
/* sched write - iter 2 writesPerItem=1 */
s_waitcnt vmcnt(0)                                 // lgkmcnt=-1 vmcnt=0wait for global read before writing to local
_ds_store_b32 v[vgprLocalWriteAddrB], v[vgprG2LB+0] offset:0 // lwoB_0_0_0_0 = (0*LSCB)*(MT1J+PAD) + (0*LSPB) = 0
v_mfma_f32_16x16x32_bf8_bf8 a[76+0:79+0], v[vgprValuB_X2_I0+4+0+0:vgprValuB_X2_I0+4+0+0+1], v[vgprValuA_X2_I0+6+0+0:vgprValuA_X2_I0+6+0+0+1], a[76:79]
/*  mfmaIndex:132  */
_buffer_load_b32 v[vgprG2LB+0], v[vgprGlobalReadOffsetB+0], s[sgprSrdB:sgprSrdB+3], 0, offen offset:0 // G -> Reg 0_0_0_0
v_mfma_f32_16x16x32_bf8_bf8 a[80+0:83+0], v[vgprValuB_X2_I0+4+0+0:vgprValuB_X2_I0+4+0+0+1], v[vgprValuA_X2_I0+8+0+0:vgprValuA_X2_I0+8+0+0+1], a[80:83]
/*  mfmaIndex:133  */
/* sched write - iter 2 writesPerItem=1 */
s_waitcnt vmcnt(0)                                 // lgkmcnt=-1 vmcnt=0wait for global read before writing to local
_ds_store_b32 v[vgprLocalWriteAddrB], v[vgprG2LB+1] offset:1088 // lwoB_0_0_1_0 = (0*LSCB)*(MT1J+PAD) + (1*LSPB) = 1088
v_mfma_f32_16x16x32_bf8_bf8 a[84+0:87+0], v[vgprValuB_X2_I0+4+0+0:vgprValuB_X2_I0+4+0+0+1], v[vgprValuA_X2_I0+10+0+0:vgprValuA_X2_I0+10+0+0+1], a[84:87]
/*  mfmaIndex:134  */
_buffer_load_b32 v[vgprG2LB+1], v[vgprGlobalReadOffsetB+1], s[sgprSrdB:sgprSrdB+3], 0, offen offset:0 // G -> Reg 0_0_1_0
v_mfma_f32_16x16x32_bf8_bf8 a[88+0:91+0], v[vgprValuB_X2_I0+4+0+0:vgprValuB_X2_I0+4+0+0+1], v[vgprValuA_X2_I0+12+0+0:vgprValuA_X2_I0+12+0+0+1], a[88:91]
/*  mfmaIndex:135  */
/* sched write - iter 2 writesPerItem=1 */
s_waitcnt vmcnt(0)                                 // lgkmcnt=-1 vmcnt=0wait for global read before writing to local
_ds_store_b32 v[vgprLocalWriteAddrB], v[vgprG2LB+2] offset:2176 // lwoB_0_0_2_0 = (0*LSCB)*(MT1J+PAD) + (2*LSPB) = 2176
v_mfma_f32_16x16x32_bf8_bf8 a[92+0:95+0], v[vgprValuB_X2_I0+4+0+0:vgprValuB_X2_I0+4+0+0+1], v[vgprValuA_X2_I0+14+0+0:vgprValuA_X2_I0+14+0+0+1], a[92:95]
/*  mfmaIndex:136  */
_buffer_load_b32 v[vgprG2LB+2], v[vgprGlobalReadOffsetB+2], s[sgprSrdB:sgprSrdB+3], 0, offen offset:0 // G -> Reg 0_0_2_0
v_mfma_f32_16x16x32_bf8_bf8 a[124+0:127+0], v[vgprValuB_X2_I0+6+0+0:vgprValuB_X2_I0+6+0+0+1], v[vgprValuA_X2_I0+14+0+0:vgprValuA_X2_I0+14+0+0+1], a[124:127]
/*  mfmaIndex:137  */
v_mfma_f32_16x16x32_bf8_bf8 a[120+0:123+0], v[vgprValuB_X2_I0+6+0+0:vgprValuB_X2_I0+6+0+0+1], v[vgprValuA_X2_I0+12+0+0:vgprValuA_X2_I0+12+0+0+1], a[120:123]
/*  mfmaIndex:138  */
/* sched write - iter 2 writesPerItem=1 */
s_waitcnt vmcnt(0)                                 // lgkmcnt=-1 vmcnt=0wait for global read before writing to local
_ds_store_b32 v[vgprLocalWriteAddrB], v[vgprG2LB+3] offset:3264 // lwoB_0_0_3_0 = (0*LSCB)*(MT1J+PAD) + (3*LSPB) = 3264
v_mfma_f32_16x16x32_bf8_bf8 a[116+0:119+0], v[vgprValuB_X2_I0+6+0+0:vgprValuB_X2_I0+6+0+0+1], v[vgprValuA_X2_I0+10+0+0:vgprValuA_X2_I0+10+0+0+1], a[116:119]
/*  mfmaIndex:139  */
_buffer_load_b32 v[vgprG2LB+3], v[vgprGlobalReadOffsetB+3], s[sgprSrdB:sgprSrdB+3], 0, offen offset:0 // G -> Reg 0_0_3_0
v_mfma_f32_16x16x32_bf8_bf8 a[112+0:115+0], v[vgprValuB_X2_I0+6+0+0:vgprValuB_X2_I0+6+0+0+1], v[vgprValuA_X2_I0+8+0+0:vgprValuA_X2_I0+8+0+0+1], a[112:115]
/*  mfmaIndex:140  */
/* sched write - iter 2 writesPerItem=1 */
s_waitcnt vmcnt(0)                                 // lgkmcnt=-1 vmcnt=0wait for global read before writing to local
_ds_store_b32 v[vgprLocalWriteAddrB], v[vgprG2LB+4] offset:4352 // lwoB_0_0_4_0 = (0*LSCB)*(MT1J+PAD) + (4*LSPB) = 4352
v_mfma_f32_16x16x32_bf8_bf8 a[108+0:111+0], v[vgprValuB_X2_I0+6+0+0:vgprValuB_X2_I0+6+0+0+1], v[vgprValuA_X2_I0+6+0+0:vgprValuA_X2_I0+6+0+0+1], a[108:111]
/*  mfmaIndex:141  */
_buffer_load_b32 v[vgprG2LB+4], v[vgprGlobalReadOffsetB+4], s[sgprSrdB:sgprSrdB+3], 0, offen offset:0 // G -> Reg 0_0_4_0
v_mfma_f32_16x16x32_bf8_bf8 a[104+0:107+0], v[vgprValuB_X2_I0+6+0+0:vgprValuB_X2_I0+6+0+0+1], v[vgprValuA_X2_I0+4+0+0:vgprValuA_X2_I0+4+0+0+1], a[104:107]
/*  mfmaIndex:142  */
v_mfma_f32_16x16x32_bf8_bf8 a[100+0:103+0], v[vgprValuB_X2_I0+6+0+0:vgprValuB_X2_I0+6+0+0+1], v[vgprValuA_X2_I0+2+0+0:vgprValuA_X2_I0+2+0+0+1], a[100:103]
/*  mfmaIndex:143  */
/* sched write - iter 2 writesPerItem=1 */
s_waitcnt vmcnt(0)                                 // lgkmcnt=-1 vmcnt=0wait for global read before writing to local
_ds_store_b32 v[vgprLocalWriteAddrB], v[vgprG2LB+5] offset:5440 // lwoB_0_0_5_0 = (0*LSCB)*(MT1J+PAD) + (5*LSPB) = 5440
v_mfma_f32_16x16x32_bf8_bf8 a[96+0:99+0], v[vgprValuB_X2_I0+6+0+0:vgprValuB_X2_I0+6+0+0+1], v[vgprValuA_X2_I0+0+0+0:vgprValuA_X2_I0+0+0+0+1], a[96:99]
/*  mfmaIndex:144  */
_buffer_load_b32 v[vgprG2LB+5], v[vgprGlobalReadOffsetB+5], s[sgprSrdB:sgprSrdB+3], 0, offen offset:0 // G -> Reg 0_0_5_0
v_mfma_f32_16x16x32_bf8_bf8 a[128+0:131+0], v[vgprValuB_X2_I0+8+0+0:vgprValuB_X2_I0+8+0+0+1], v[vgprValuA_X2_I0+0+0+0:vgprValuA_X2_I0+0+0+0+1], a[128:131]
/*  mfmaIndex:145  */
/* sched write - iter 2 writesPerItem=1 */
s_waitcnt vmcnt(0)                                 // lgkmcnt=-1 vmcnt=0wait for global read before writing to local
_ds_store_b32 v[vgprLocalWriteAddrB], v[vgprG2LB+6] offset:6528 // lwoB_0_0_6_0 = (0*LSCB)*(MT1J+PAD) + (6*LSPB) = 6528
v_mfma_f32_16x16x32_bf8_bf8 a[132+0:135+0], v[vgprValuB_X2_I0+8+0+0:vgprValuB_X2_I0+8+0+0+1], v[vgprValuA_X2_I0+2+0+0:vgprValuA_X2_I0+2+0+0+1], a[132:135]
/*  mfmaIndex:146  */
_buffer_load_b32 v[vgprG2LB+6], v[vgprGlobalReadOffsetB+6], s[sgprSrdB:sgprSrdB+3], 0, offen offset:0 // G -> Reg 0_0_6_0
v_mfma_f32_16x16x32_bf8_bf8 a[136+0:139+0], v[vgprValuB_X2_I0+8+0+0:vgprValuB_X2_I0+8+0+0+1], v[vgprValuA_X2_I0+4+0+0:vgprValuA_X2_I0+4+0+0+1], a[136:139]
/*  mfmaIndex:147  */
v_mfma_f32_16x16x32_bf8_bf8 a[140+0:143+0], v[vgprValuB_X2_I0+8+0+0:vgprValuB_X2_I0+8+0+0+1], v[vgprValuA_X2_I0+6+0+0:vgprValuA_X2_I0+6+0+0+1], a[140:143]
/*  mfmaIndex:148  */
/* sched write - iter 2 writesPerItem=1 */
s_waitcnt vmcnt(0)                                 // lgkmcnt=-1 vmcnt=0wait for global read before writing to local
_ds_store_b32 v[vgprLocalWriteAddrB], v[vgprG2LB+7] offset:7616 // lwoB_0_0_7_0 = (0*LSCB)*(MT1J+PAD) + (7*LSPB) = 7616
v_mfma_f32_16x16x32_bf8_bf8 a[144+0:147+0], v[vgprValuB_X2_I0+8+0+0:vgprValuB_X2_I0+8+0+0+1], v[vgprValuA_X2_I0+8+0+0:vgprValuA_X2_I0+8+0+0+1], a[144:147]
/*  mfmaIndex:149  */
_buffer_load_b32 v[vgprG2LB+7], v[vgprGlobalReadOffsetB+7], s[sgprSrdB:sgprSrdB+3], 0, offen offset:0 // G -> Reg 0_0_7_0
v_mfma_f32_16x16x32_bf8_bf8 a[148+0:151+0], v[vgprValuB_X2_I0+8+0+0:vgprValuB_X2_I0+8+0+0+1], v[vgprValuA_X2_I0+10+0+0:vgprValuA_X2_I0+10+0+0+1], a[148:151]
/*  mfmaIndex:150  */
/* sched write - iter 2 writesPerItem=1 */
s_waitcnt vmcnt(0)                                 // lgkmcnt=-1 vmcnt=0wait for global read before writing to local
_ds_store_b32 v[vgprLocalWriteAddrB], v[vgprG2LB+8] offset:8704 // lwoB_0_0_8_0 = (0*LSCB)*(MT1J+PAD) + (8*LSPB) = 8704
v_mfma_f32_16x16x32_bf8_bf8 a[152+0:155+0], v[vgprValuB_X2_I0+8+0+0:vgprValuB_X2_I0+8+0+0+1], v[vgprValuA_X2_I0+12+0+0:vgprValuA_X2_I0+12+0+0+1], a[152:155]
/*  mfmaIndex:151  */
_buffer_load_b32 v[vgprG2LB+8], v[vgprGlobalReadOffsetB+8], s[sgprSrdB:sgprSrdB+3], 0, offen offset:0 // G -> Reg 0_0_8_0
v_mfma_f32_16x16x32_bf8_bf8 a[156+0:159+0], v[vgprValuB_X2_I0+8+0+0:vgprValuB_X2_I0+8+0+0+1], v[vgprValuA_X2_I0+14+0+0:vgprValuA_X2_I0+14+0+0+1], a[156:159]
/*  mfmaIndex:152  */
v_mfma_f32_16x16x32_bf8_bf8 a[188+0:191+0], v[vgprValuB_X2_I0+10+0+0:vgprValuB_X2_I0+10+0+0+1], v[vgprValuA_X2_I0+14+0+0:vgprValuA_X2_I0+14+0+0+1], a[188:191]
/*  mfmaIndex:153  */
/* sched write - iter 2 writesPerItem=1 */
s_waitcnt vmcnt(0)                                 // lgkmcnt=-1 vmcnt=0wait for global read before writing to local
_ds_store_b32 v[vgprLocalWriteAddrB], v[vgprG2LB+9] offset:9792 // lwoB_0_0_9_0 = (0*LSCB)*(MT1J+PAD) + (9*LSPB) = 9792
v_mfma_f32_16x16x32_bf8_bf8 a[184+0:187+0], v[vgprValuB_X2_I0+10+0+0:vgprValuB_X2_I0+10+0+0+1], v[vgprValuA_X2_I0+12+0+0:vgprValuA_X2_I0+12+0+0+1], a[184:187]
/*  mfmaIndex:154  */
_buffer_load_b32 v[vgprG2LB+9], v[vgprGlobalReadOffsetB+9], s[sgprSrdB:sgprSrdB+3], 0, offen offset:0 // G -> Reg 0_0_9_0
v_mfma_f32_16x16x32_bf8_bf8 a[180+0:183+0], v[vgprValuB_X2_I0+10+0+0:vgprValuB_X2_I0+10+0+0+1], v[vgprValuA_X2_I0+10+0+0:vgprValuA_X2_I0+10+0+0+1], a[180:183]
/*  mfmaIndex:155  */
/* sched write - iter 2 writesPerItem=1 */
s_waitcnt vmcnt(0)                                 // lgkmcnt=-1 vmcnt=0wait for global read before writing to local
_ds_store_b32 v[vgprLocalWriteAddrB], v[vgprG2LB+10] offset:10880 // lwoB_0_0_10_0 = (0*LSCB)*(MT1J+PAD) + (10*LSPB) = 10880
v_mfma_f32_16x16x32_bf8_bf8 a[176+0:179+0], v[vgprValuB_X2_I0+10+0+0:vgprValuB_X2_I0+10+0+0+1], v[vgprValuA_X2_I0+8+0+0:vgprValuA_X2_I0+8+0+0+1], a[176:179]
/*  mfmaIndex:156  */
_buffer_load_b32 v[vgprG2LB+10], v[vgprGlobalReadOffsetB+10], s[sgprSrdB:sgprSrdB+3], 0, offen offset:0 // G -> Reg 0_0_10_0
v_mfma_f32_16x16x32_bf8_bf8 a[172+0:175+0], v[vgprValuB_X2_I0+10+0+0:vgprValuB_X2_I0+10+0+0+1], v[vgprValuA_X2_I0+6+0+0:vgprValuA_X2_I0+6+0+0+1], a[172:175]
/*  mfmaIndex:157  */
v_mfma_f32_16x16x32_bf8_bf8 a[168+0:171+0], v[vgprValuB_X2_I0+10+0+0:vgprValuB_X2_I0+10+0+0+1], v[vgprValuA_X2_I0+4+0+0:vgprValuA_X2_I0+4+0+0+1], a[168:171]
/*  mfmaIndex:158  */
/* sched write - iter 2 writesPerItem=1 */
s_waitcnt vmcnt(0)                                 // lgkmcnt=-1 vmcnt=0wait for global read before writing to local
_ds_store_b32 v[vgprLocalWriteAddrB], v[vgprG2LB+11] offset:11968 // lwoB_0_0_11_0 = (0*LSCB)*(MT1J+PAD) + (11*LSPB) = 11968
v_mfma_f32_16x16x32_bf8_bf8 a[164+0:167+0], v[vgprValuB_X2_I0+10+0+0:vgprValuB_X2_I0+10+0+0+1], v[vgprValuA_X2_I0+2+0+0:vgprValuA_X2_I0+2+0+0+1], a[164:167]
/*  mfmaIndex:159  */
_buffer_load_b32 v[vgprG2LB+11], v[vgprGlobalReadOffsetB+11], s[sgprSrdB:sgprSrdB+3], 0, offen offset:0 // G -> Reg 0_0_11_0
v_mfma_f32_16x16x32_bf8_bf8 a[160+0:163+0], v[vgprValuB_X2_I0+10+0+0:vgprValuB_X2_I0+10+0+0+1], v[vgprValuA_X2_I0+0+0+0:vgprValuA_X2_I0+0+0+0+1], a[160:163]
/*  mfmaIndex:160  */
/* sched write - iter 2 writesPerItem=1 */
s_waitcnt vmcnt(0)                                 // lgkmcnt=-1 vmcnt=0wait for global read before writing to local
_ds_store_b32 v[vgprLocalWriteAddrB], v[vgprG2LB+12] offset:13056 // lwoB_0_0_12_0 = (0*LSCB)*(MT1J+PAD) + (12*LSPB) = 13056
v_mfma_f32_16x16x32_bf8_bf8 a[192+0:195+0], v[vgprValuB_X2_I0+12+0+0:vgprValuB_X2_I0+12+0+0+1], v[vgprValuA_X2_I0+0+0+0:vgprValuA_X2_I0+0+0+0+1], a[192:195]
/*  mfmaIndex:161  */
_buffer_load_b32 v[vgprG2LB+12], v[vgprGlobalReadOffsetB+12], s[sgprSrdB:sgprSrdB+3], 0, offen offset:0 // G -> Reg 0_0_12_0
v_mfma_f32_16x16x32_bf8_bf8 a[196+0:199+0], v[vgprValuB_X2_I0+12+0+0:vgprValuB_X2_I0+12+0+0+1], v[vgprValuA_X2_I0+2+0+0:vgprValuA_X2_I0+2+0+0+1], a[196:199]
/*  mfmaIndex:162  */
v_mfma_f32_16x16x32_bf8_bf8 a[200+0:203+0], v[vgprValuB_X2_I0+12+0+0:vgprValuB_X2_I0+12+0+0+1], v[vgprValuA_X2_I0+4+0+0:vgprValuA_X2_I0+4+0+0+1], a[200:203]
/*  mfmaIndex:163  */
/* sched write - iter 2 writesPerItem=1 */
s_waitcnt vmcnt(0)                                 // lgkmcnt=-1 vmcnt=0wait for global read before writing to local
_ds_store_b32 v[vgprLocalWriteAddrB], v[vgprG2LB+13] offset:14144 // lwoB_0_0_13_0 = (0*LSCB)*(MT1J+PAD) + (13*LSPB) = 14144
v_mfma_f32_16x16x32_bf8_bf8 a[204+0:207+0], v[vgprValuB_X2_I0+12+0+0:vgprValuB_X2_I0+12+0+0+1], v[vgprValuA_X2_I0+6+0+0:vgprValuA_X2_I0+6+0+0+1], a[204:207]
/*  mfmaIndex:164  */
_buffer_load_b32 v[vgprG2LB+13], v[vgprGlobalReadOffsetB+13], s[sgprSrdB:sgprSrdB+3], 0, offen offset:0 // G -> Reg 0_0_13_0
v_mfma_f32_16x16x32_bf8_bf8 a[208+0:211+0], v[vgprValuB_X2_I0+12+0+0:vgprValuB_X2_I0+12+0+0+1], v[vgprValuA_X2_I0+8+0+0:vgprValuA_X2_I0+8+0+0+1], a[208:211]
/*  mfmaIndex:165  */
/* sched write - iter 2 writesPerItem=1 */
s_waitcnt vmcnt(0)                                 // lgkmcnt=-1 vmcnt=0wait for global read before writing to local
_ds_store_b32 v[vgprLocalWriteAddrB], v[vgprG2LB+14] offset:15232 // lwoB_0_0_14_0 = (0*LSCB)*(MT1J+PAD) + (14*LSPB) = 15232
v_mfma_f32_16x16x32_bf8_bf8 a[212+0:215+0], v[vgprValuB_X2_I0+12+0+0:vgprValuB_X2_I0+12+0+0+1], v[vgprValuA_X2_I0+10+0+0:vgprValuA_X2_I0+10+0+0+1], a[212:215]
/*  mfmaIndex:166  */
_buffer_load_b32 v[vgprG2LB+14], v[vgprGlobalReadOffsetB+14], s[sgprSrdB:sgprSrdB+3], 0, offen offset:0 // G -> Reg 0_0_14_0
v_mfma_f32_16x16x32_bf8_bf8 a[216+0:219+0], v[vgprValuB_X2_I0+12+0+0:vgprValuB_X2_I0+12+0+0+1], v[vgprValuA_X2_I0+12+0+0:vgprValuA_X2_I0+12+0+0+1], a[216:219]
/*  mfmaIndex:167  */

/* local read swap offsets a */

/* local read swap offsets b */

/* local read init pointers a */

/* localReadInitPointers */

/* local read init pointers b */

/* localReadInitPointers */
v_mfma_f32_16x16x32_bf8_bf8 a[220+0:223+0], v[vgprValuB_X2_I0+12+0+0:vgprValuB_X2_I0+12+0+0+1], v[vgprValuA_X2_I0+14+0+0:vgprValuA_X2_I0+14+0+0+1], a[220:223]


/* iter 3 (swap and reset local write pointers iteration)  */

/*  grEndMfmaIndex:18, lwStartMfmaIndex:52, lwEndMfmaIndex:198  */
/*  numMfmaForLR:20, barrierMfmaIndex:203, LocalWritePerMfma:0.405 */
/*  mfmaIndex:168  */
/* sched write - iter 3 writesPerItem=1 */
s_waitcnt vmcnt(0)                                 // lgkmcnt=-1 vmcnt=0wait for global read before writing to local
_ds_store_b32 v[vgprLocalWriteAddrB], v[vgprG2LB+15] offset:16320 // lwoB_0_0_15_0 = (0*LSCB)*(MT1J+PAD) + (15*LSPB) = 16320
v_mfma_f32_16x16x32_bf8_bf8 a[0+0:3+0], v[vgprValuB_X3_I0+0+0+0:vgprValuB_X3_I0+0+0+0+1], v[vgprValuA_X3_I0+0+0+0:vgprValuA_X3_I0+0+0+0+1], a[0:3]
/*  mfmaIndex:169  */
_buffer_load_b32 v[vgprG2LB+15], v[vgprGlobalReadOffsetB+15], s[sgprSrdB:sgprSrdB+3], 0, offen offset:0 // G -> Reg 0_0_15_0
v_mfma_f32_16x16x32_bf8_bf8 a[4+0:7+0], v[vgprValuB_X3_I0+0+0+0:vgprValuB_X3_I0+0+0+0+1], v[vgprValuA_X3_I0+2+0+0:vgprValuA_X3_I0+2+0+0+1], a[4:7]
/*  mfmaIndex:170  */
/* sched write - iter 3 writesPerItem=1 */
s_waitcnt vmcnt(0)                                 // lgkmcnt=-1 vmcnt=0wait for global read before writing to local
_ds_store_b32 v[vgprLocalWriteAddrB], v[vgprG2LB+16] offset:17408 // lwoB_0_0_16_0 = (0*LSCB)*(MT1J+PAD) + (16*LSPB) = 17408
v_mfma_f32_16x16x32_bf8_bf8 a[8+0:11+0], v[vgprValuB_X3_I0+0+0+0:vgprValuB_X3_I0+0+0+0+1], v[vgprValuA_X3_I0+4+0+0:vgprValuA_X3_I0+4+0+0+1], a[8:11]
/*  mfmaIndex:171  */
_buffer_load_b32 v[vgprG2LB+16], v[vgprGlobalReadOffsetB+16], s[sgprSrdB:sgprSrdB+3], 0, offen offset:0 // G -> Reg 0_0_16_0
v_mfma_f32_16x16x32_bf8_bf8 a[12+0:15+0], v[vgprValuB_X3_I0+0+0+0:vgprValuB_X3_I0+0+0+0+1], v[vgprValuA_X3_I0+6+0+0:vgprValuA_X3_I0+6+0+0+1], a[12:15]
/*  mfmaIndex:172  */
/* sched write - iter 3 writesPerItem=1 */
s_waitcnt vmcnt(0)                                 // lgkmcnt=-1 vmcnt=0wait for global read before writing to local
_ds_store_b32 v[vgprLocalWriteAddrB], v[vgprG2LB+17] offset:18496 // lwoB_0_0_17_0 = (0*LSCB)*(MT1J+PAD) + (17*LSPB) = 18496
v_mfma_f32_16x16x32_bf8_bf8 a[16+0:19+0], v[vgprValuB_X3_I0+0+0+0:vgprValuB_X3_I0+0+0+0+1], v[vgprValuA_X3_I0+8+0+0:vgprValuA_X3_I0+8+0+0+1], a[16:19]
/*  mfmaIndex:173  */
_buffer_load_b32 v[vgprG2LB+17], v[vgprGlobalReadOffsetB+17], s[sgprSrdB:sgprSrdB+3], 0, offen offset:0 // G -> Reg 0_0_17_0
v_mfma_f32_16x16x32_bf8_bf8 a[20+0:23+0], v[vgprValuB_X3_I0+0+0+0:vgprValuB_X3_I0+0+0+0+1], v[vgprValuA_X3_I0+10+0+0:vgprValuA_X3_I0+10+0+0+1], a[20:23]
/*  mfmaIndex:174  */
v_mfma_f32_16x16x32_bf8_bf8 a[24+0:27+0], v[vgprValuB_X3_I0+0+0+0:vgprValuB_X3_I0+0+0+0+1], v[vgprValuA_X3_I0+12+0+0:vgprValuA_X3_I0+12+0+0+1], a[24:27]
/*  mfmaIndex:175  */
/* sched write - iter 3 writesPerItem=1 */
s_waitcnt vmcnt(0)                                 // lgkmcnt=-1 vmcnt=0wait for global read before writing to local
_ds_store_b32 v[vgprLocalWriteAddrB], v[vgprG2LB+18] offset:19584 // lwoB_0_0_18_0 = (0*LSCB)*(MT1J+PAD) + (18*LSPB) = 19584
v_mfma_f32_16x16x32_bf8_bf8 a[28+0:31+0], v[vgprValuB_X3_I0+0+0+0:vgprValuB_X3_I0+0+0+0+1], v[vgprValuA_X3_I0+14+0+0:vgprValuA_X3_I0+14+0+0+1], a[28:31]
/*  mfmaIndex:176  */
_buffer_load_b32 v[vgprG2LB+18], v[vgprGlobalReadOffsetB+18], s[sgprSrdB:sgprSrdB+3], 0, offen offset:0 // G -> Reg 0_0_18_0
v_mfma_f32_16x16x32_bf8_bf8 a[60+0:63+0], v[vgprValuB_X3_I0+2+0+0:vgprValuB_X3_I0+2+0+0+1], v[vgprValuA_X3_I0+14+0+0:vgprValuA_X3_I0+14+0+0+1], a[60:63]
/*  mfmaIndex:177  */
/* sched write - iter 3 writesPerItem=1 */
s_waitcnt vmcnt(0)                                 // lgkmcnt=-1 vmcnt=0wait for global read before writing to local
_ds_store_b32 v[vgprLocalWriteAddrB], v[vgprG2LB+19] offset:20672 // lwoB_0_0_19_0 = (0*LSCB)*(MT1J+PAD) + (19*LSPB) = 20672
v_mfma_f32_16x16x32_bf8_bf8 a[56+0:59+0], v[vgprValuB_X3_I0+2+0+0:vgprValuB_X3_I0+2+0+0+1], v[vgprValuA_X3_I0+12+0+0:vgprValuA_X3_I0+12+0+0+1], a[56:59]
/*  mfmaIndex:178  */
_buffer_load_b32 v[vgprG2LB+19], v[vgprGlobalReadOffsetB+19], s[sgprSrdB:sgprSrdB+3], 0, offen offset:0 // G -> Reg 0_0_19_0
v_mfma_f32_16x16x32_bf8_bf8 a[52+0:55+0], v[vgprValuB_X3_I0+2+0+0:vgprValuB_X3_I0+2+0+0+1], v[vgprValuA_X3_I0+10+0+0:vgprValuA_X3_I0+10+0+0+1], a[52:55]
/*  mfmaIndex:179  */
v_mfma_f32_16x16x32_bf8_bf8 a[48+0:51+0], v[vgprValuB_X3_I0+2+0+0:vgprValuB_X3_I0+2+0+0+1], v[vgprValuA_X3_I0+8+0+0:vgprValuA_X3_I0+8+0+0+1], a[48:51]
/*  mfmaIndex:180  */
/* sched write - iter 3 writesPerItem=1 */
s_waitcnt vmcnt(0)                                 // lgkmcnt=-1 vmcnt=0wait for global read before writing to local
_ds_store_b32 v[vgprLocalWriteAddrB], v[vgprG2LB+20] offset:21760 // lwoB_0_0_20_0 = (0*LSCB)*(MT1J+PAD) + (20*LSPB) = 21760
v_mfma_f32_16x16x32_bf8_bf8 a[44+0:47+0], v[vgprValuB_X3_I0+2+0+0:vgprValuB_X3_I0+2+0+0+1], v[vgprValuA_X3_I0+6+0+0:vgprValuA_X3_I0+6+0+0+1], a[44:47]
/*  mfmaIndex:181  */
_buffer_load_b32 v[vgprG2LB+20], v[vgprGlobalReadOffsetB+20], s[sgprSrdB:sgprSrdB+3], 0, offen offset:0 // G -> Reg 0_0_20_0
v_mfma_f32_16x16x32_bf8_bf8 a[40+0:43+0], v[vgprValuB_X3_I0+2+0+0:vgprValuB_X3_I0+2+0+0+1], v[vgprValuA_X3_I0+4+0+0:vgprValuA_X3_I0+4+0+0+1], a[40:43]
/*  mfmaIndex:182  */
/* sched write - iter 3 writesPerItem=1 */
s_waitcnt vmcnt(0)                                 // lgkmcnt=-1 vmcnt=0wait for global read before writing to local
_ds_store_b32 v[vgprLocalWriteAddrB], v[vgprG2LB+21] offset:22848 // lwoB_0_0_21_0 = (0*LSCB)*(MT1J+PAD) + (21*LSPB) = 22848
v_mfma_f32_16x16x32_bf8_bf8 a[36+0:39+0], v[vgprValuB_X3_I0+2+0+0:vgprValuB_X3_I0+2+0+0+1], v[vgprValuA_X3_I0+2+0+0:vgprValuA_X3_I0+2+0+0+1], a[36:39]
/*  mfmaIndex:183  */
_buffer_load_b32 v[vgprG2LB+21], v[vgprGlobalReadOffsetB+21], s[sgprSrdB:sgprSrdB+3], 0, offen offset:0 // G -> Reg 0_0_21_0
v_mfma_f32_16x16x32_bf8_bf8 a[32+0:35+0], v[vgprValuB_X3_I0+2+0+0:vgprValuB_X3_I0+2+0+0+1], v[vgprValuA_X3_I0+0+0+0:vgprValuA_X3_I0+0+0+0+1], a[32:35]
/*  mfmaIndex:184  */
v_mfma_f32_16x16x32_bf8_bf8 a[64+0:67+0], v[vgprValuB_X3_I0+4+0+0:vgprValuB_X3_I0+4+0+0+1], v[vgprValuA_X3_I0+0+0+0:vgprValuA_X3_I0+0+0+0+1], a[64:67]
/*  mfmaIndex:185  */
/* sched write - iter 3 writesPerItem=1 */
s_waitcnt vmcnt(0)                                 // lgkmcnt=-1 vmcnt=0wait for global read before writing to local
_ds_store_b32 v[vgprLocalWriteAddrB], v[vgprG2LB+22] offset:23936 // lwoB_0_0_22_0 = (0*LSCB)*(MT1J+PAD) + (22*LSPB) = 23936
v_mfma_f32_16x16x32_bf8_bf8 a[68+0:71+0], v[vgprValuB_X3_I0+4+0+0:vgprValuB_X3_I0+4+0+0+1], v[vgprValuA_X3_I0+2+0+0:vgprValuA_X3_I0+2+0+0+1], a[68:71]
/*  mfmaIndex:186  */
_buffer_load_b32 v[vgprG2LB+22], v[vgprGlobalReadOffsetB+22], s[sgprSrdB:sgprSrdB+3], 0, offen offset:0 // G -> Reg 0_0_22_0
v_mfma_f32_16x16x32_bf8_bf8 a[72+0:75+0], v[vgprValuB_X3_I0+4+0+0:vgprValuB_X3_I0+4+0+0+1], v[vgprValuA_X3_I0+4+0+0:vgprValuA_X3_I0+4+0+0+1], a[72:75]
/*  mfmaIndex:187  */
/* sched write - iter 3 writesPerItem=1 */
s_waitcnt vmcnt(0)                                 // lgkmcnt=-1 vmcnt=0wait for global read before writing to local
_ds_store_b32 v[vgprLocalWriteAddrB], v[vgprG2LB+23] offset:25024 // lwoB_0_0_23_0 = (0*LSCB)*(MT1J+PAD) + (23*LSPB) = 25024
v_mfma_f32_16x16x32_bf8_bf8 a[76+0:79+0], v[vgprValuB_X3_I0+4+0+0:vgprValuB_X3_I0+4+0+0+1], v[vgprValuA_X3_I0+6+0+0:vgprValuA_X3_I0+6+0+0+1], a[76:79]
/*  mfmaIndex:188  */
_buffer_load_b32 v[vgprG2LB+23], v[vgprGlobalReadOffsetB+23], s[sgprSrdB:sgprSrdB+3], 0, offen offset:0 // G -> Reg 0_0_23_0
v_mfma_f32_16x16x32_bf8_bf8 a[80+0:83+0], v[vgprValuB_X3_I0+4+0+0:vgprValuB_X3_I0+4+0+0+1], v[vgprValuA_X3_I0+8+0+0:vgprValuA_X3_I0+8+0+0+1], a[80:83]
/*  mfmaIndex:189  */
v_mfma_f32_16x16x32_bf8_bf8 a[84+0:87+0], v[vgprValuB_X3_I0+4+0+0:vgprValuB_X3_I0+4+0+0+1], v[vgprValuA_X3_I0+10+0+0:vgprValuA_X3_I0+10+0+0+1], a[84:87]
/*  mfmaIndex:190  */
/* sched write - iter 3 writesPerItem=1 */
s_waitcnt vmcnt(0)                                 // lgkmcnt=-1 vmcnt=0wait for global read before writing to local
_ds_store_b32 v[vgprLocalWriteAddrB], v[vgprG2LB+24] offset:26112 // lwoB_0_0_24_0 = (0*LSCB)*(MT1J+PAD) + (24*LSPB) = 26112
v_mfma_f32_16x16x32_bf8_bf8 a[88+0:91+0], v[vgprValuB_X3_I0+4+0+0:vgprValuB_X3_I0+4+0+0+1], v[vgprValuA_X3_I0+12+0+0:vgprValuA_X3_I0+12+0+0+1], a[88:91]
/*  mfmaIndex:191  */
_buffer_load_b32 v[vgprG2LB+24], v[vgprGlobalReadOffsetB+24], s[sgprSrdB:sgprSrdB+3], 0, offen offset:0 // G -> Reg 0_0_24_0
v_mfma_f32_16x16x32_bf8_bf8 a[92+0:95+0], v[vgprValuB_X3_I0+4+0+0:vgprValuB_X3_I0+4+0+0+1], v[vgprValuA_X3_I0+14+0+0:vgprValuA_X3_I0+14+0+0+1], a[92:95]
/*  mfmaIndex:192  */
/* sched write - iter 3 writesPerItem=1 */
s_waitcnt vmcnt(0)                                 // lgkmcnt=-1 vmcnt=0wait for global read before writing to local
_ds_store_b32 v[vgprLocalWriteAddrB], v[vgprG2LB+25] offset:27200 // lwoB_0_0_25_0 = (0*LSCB)*(MT1J+PAD) + (25*LSPB) = 27200
v_mfma_f32_16x16x32_bf8_bf8 a[124+0:127+0], v[vgprValuB_X3_I0+6+0+0:vgprValuB_X3_I0+6+0+0+1], v[vgprValuA_X3_I0+14+0+0:vgprValuA_X3_I0+14+0+0+1], a[124:127]
/*  mfmaIndex:193  */
_buffer_load_b32 v[vgprG2LB+25], v[vgprGlobalReadOffsetB+25], s[sgprSrdB:sgprSrdB+3], 0, offen offset:0 // G -> Reg 0_0_25_0
v_mfma_f32_16x16x32_bf8_bf8 a[120+0:123+0], v[vgprValuB_X3_I0+6+0+0:vgprValuB_X3_I0+6+0+0+1], v[vgprValuA_X3_I0+12+0+0:vgprValuA_X3_I0+12+0+0+1], a[120:123]
/*  mfmaIndex:194  */
v_mfma_f32_16x16x32_bf8_bf8 a[116+0:119+0], v[vgprValuB_X3_I0+6+0+0:vgprValuB_X3_I0+6+0+0+1], v[vgprValuA_X3_I0+10+0+0:vgprValuA_X3_I0+10+0+0+1], a[116:119]
/*  mfmaIndex:195  */
/* sched write - iter 3 writesPerItem=1 */
s_waitcnt vmcnt(0)                                 // lgkmcnt=-1 vmcnt=0wait for global read before writing to local
_ds_store_b32 v[vgprLocalWriteAddrB], v[vgprG2LB+26] offset:28288 // lwoB_0_0_26_0 = (0*LSCB)*(MT1J+PAD) + (26*LSPB) = 28288
v_mfma_f32_16x16x32_bf8_bf8 a[112+0:115+0], v[vgprValuB_X3_I0+6+0+0:vgprValuB_X3_I0+6+0+0+1], v[vgprValuA_X3_I0+8+0+0:vgprValuA_X3_I0+8+0+0+1], a[112:115]
/*  mfmaIndex:196  */
_buffer_load_b32 v[vgprG2LB+26], v[vgprGlobalReadOffsetB+26], s[sgprSrdB:sgprSrdB+3], 0, offen offset:0 // G -> Reg 0_0_26_0
v_mfma_f32_16x16x32_bf8_bf8 a[108+0:111+0], v[vgprValuB_X3_I0+6+0+0:vgprValuB_X3_I0+6+0+0+1], v[vgprValuA_X3_I0+6+0+0:vgprValuA_X3_I0+6+0+0+1], a[108:111]
/*  mfmaIndex:197  */
/* sched write - iter 3 writesPerItem=1 */
s_waitcnt vmcnt(0)                                 // lgkmcnt=-1 vmcnt=0wait for global read before writing to local
_ds_store_b32 v[vgprLocalWriteAddrB], v[vgprG2LB+27] offset:29376 // lwoB_0_0_27_0 = (0*LSCB)*(MT1J+PAD) + (27*LSPB) = 29376
v_mfma_f32_16x16x32_bf8_bf8 a[104+0:107+0], v[vgprValuB_X3_I0+6+0+0:vgprValuB_X3_I0+6+0+0+1], v[vgprValuA_X3_I0+4+0+0:vgprValuA_X3_I0+4+0+0+1], a[104:107]
/*  mfmaIndex:198  */
_buffer_load_b32 v[vgprG2LB+27], v[vgprGlobalReadOffsetB+27], s[sgprSrdB:sgprSrdB+3], 0, offen offset:0 // G -> Reg 0_0_27_0

/* local write swap offsets a */

/* local write swap offsets b */
v_mfma_f32_16x16x32_bf8_bf8 a[100+0:103+0], v[vgprValuB_X3_I0+6+0+0:vgprValuB_X3_I0+6+0+0+1], v[vgprValuA_X3_I0+2+0+0:vgprValuA_X3_I0+2+0+0+1], a[100:103]
/*  mfmaIndex:199  */
v_mfma_f32_16x16x32_bf8_bf8 a[96+0:99+0], v[vgprValuB_X3_I0+6+0+0:vgprValuB_X3_I0+6+0+0+1], v[vgprValuA_X3_I0+0+0+0:vgprValuA_X3_I0+0+0+0+1], a[96:99]
/*  mfmaIndex:200  */
	;; [unrolled: 2-line block ×4, first 2 shown]
v_mfma_f32_16x16x32_bf8_bf8 a[136+0:139+0], v[vgprValuB_X3_I0+8+0+0:vgprValuB_X3_I0+8+0+0+1], v[vgprValuA_X3_I0+4+0+0:vgprValuA_X3_I0+4+0+0+1], a[136:139]
s_setprio 0                                        // store optimization
/*  mfmaIndex:203  */
s_waitcnt lgkmcnt(0)                               // lgkmcnt=0 vmcnt=-13wait for local write
// Skip force waitcnt0
s_barrier //
v_mfma_f32_16x16x32_bf8_bf8 a[140+0:143+0], v[vgprValuB_X3_I0+8+0+0:vgprValuB_X3_I0+8+0+0+1], v[vgprValuA_X3_I0+6+0+0:vgprValuA_X3_I0+6+0+0+1], a[140:143]
/*  mfmaIndex:204  */
s_setprio 3                                        // store optimization
_ds_load_b64 v[vgprValuA_X0_I0+0:vgprValuA_X0_I0+0+1], v[vgprLocalReadAddrA] offset:0 // L -> Reg lro=0 swapByteOffset=0 ti=256 vIdx=0 rIdx=0 oIdx=0 buffer=0 iui=0
v_mfma_f32_16x16x32_bf8_bf8 a[144+0:147+0], v[vgprValuB_X3_I0+8+0+0:vgprValuB_X3_I0+8+0+0+1], v[vgprValuA_X3_I0+8+0+0:vgprValuA_X3_I0+8+0+0+1], a[144:147]
/*  mfmaIndex:205  */
_ds_load_b64 v[vgprValuB_X0_I0+0:vgprValuB_X0_I0+0+1], v[vgprLocalReadAddrB] offset:0 // L -> Reg lro=0 swapByteOffset=0 ti=32 vIdx=0 rIdx=0 oIdx=0 buffer=0 iui=0
v_mfma_f32_16x16x32_bf8_bf8 a[148+0:151+0], v[vgprValuB_X3_I0+8+0+0:vgprValuB_X3_I0+8+0+0+1], v[vgprValuA_X3_I0+10+0+0:vgprValuA_X3_I0+10+0+0+1], a[148:151]
/*  mfmaIndex:206  */
_ds_load_b64 v[vgprValuA_X0_I0+2:vgprValuA_X0_I0+2+1], v[vgprLocalReadAddrA] offset:128 // L -> Reg lro=0 swapByteOffset=0 ti=256 vIdx=0 rIdx=0 oIdx=0 buffer=0 iui=0
v_mfma_f32_16x16x32_bf8_bf8 a[152+0:155+0], v[vgprValuB_X3_I0+8+0+0:vgprValuB_X3_I0+8+0+0+1], v[vgprValuA_X3_I0+12+0+0:vgprValuA_X3_I0+12+0+0+1], a[152:155]
/*  mfmaIndex:207  */
_ds_load_b64 v[vgprValuA_X0_I0+4:vgprValuA_X0_I0+4+1], v[vgprLocalReadAddrA] offset:256 // L -> Reg lro=0 swapByteOffset=0 ti=256 vIdx=0 rIdx=0 oIdx=0 buffer=0 iui=0
v_mfma_f32_16x16x32_bf8_bf8 a[156+0:159+0], v[vgprValuB_X3_I0+8+0+0:vgprValuB_X3_I0+8+0+0+1], v[vgprValuA_X3_I0+14+0+0:vgprValuA_X3_I0+14+0+0+1], a[156:159]
/*  mfmaIndex:208  */
_ds_load_b64 v[vgprValuA_X0_I0+6:vgprValuA_X0_I0+6+1], v[vgprLocalReadAddrA] offset:384 // L -> Reg lro=0 swapByteOffset=0 ti=256 vIdx=0 rIdx=0 oIdx=0 buffer=0 iui=0
v_mfma_f32_16x16x32_bf8_bf8 a[188+0:191+0], v[vgprValuB_X3_I0+10+0+0:vgprValuB_X3_I0+10+0+0+1], v[vgprValuA_X3_I0+14+0+0:vgprValuA_X3_I0+14+0+0+1], a[188:191]
/*  mfmaIndex:209  */
_ds_load_b64 v[vgprValuA_X0_I0+8:vgprValuA_X0_I0+8+1], v[vgprLocalReadAddrA] offset:512 // L -> Reg lro=0 swapByteOffset=0 ti=256 vIdx=0 rIdx=0 oIdx=0 buffer=0 iui=0
v_mfma_f32_16x16x32_bf8_bf8 a[184+0:187+0], v[vgprValuB_X3_I0+10+0+0:vgprValuB_X3_I0+10+0+0+1], v[vgprValuA_X3_I0+12+0+0:vgprValuA_X3_I0+12+0+0+1], a[184:187]
/*  mfmaIndex:210  */
_ds_load_b64 v[vgprValuA_X0_I0+10:vgprValuA_X0_I0+10+1], v[vgprLocalReadAddrA] offset:640 // L -> Reg lro=0 swapByteOffset=0 ti=256 vIdx=0 rIdx=0 oIdx=0 buffer=0 iui=0
v_mfma_f32_16x16x32_bf8_bf8 a[180+0:183+0], v[vgprValuB_X3_I0+10+0+0:vgprValuB_X3_I0+10+0+0+1], v[vgprValuA_X3_I0+10+0+0:vgprValuA_X3_I0+10+0+0+1], a[180:183]
/*  mfmaIndex:211  */
_ds_load_b64 v[vgprValuA_X0_I0+12:vgprValuA_X0_I0+12+1], v[vgprLocalReadAddrA] offset:768 // L -> Reg lro=0 swapByteOffset=0 ti=256 vIdx=0 rIdx=0 oIdx=0 buffer=0 iui=0
v_mfma_f32_16x16x32_bf8_bf8 a[176+0:179+0], v[vgprValuB_X3_I0+10+0+0:vgprValuB_X3_I0+10+0+0+1], v[vgprValuA_X3_I0+8+0+0:vgprValuA_X3_I0+8+0+0+1], a[176:179]
/*  mfmaIndex:212  */
_ds_load_b64 v[vgprValuA_X0_I0+14:vgprValuA_X0_I0+14+1], v[vgprLocalReadAddrA] offset:896 // L -> Reg lro=0 swapByteOffset=0 ti=256 vIdx=0 rIdx=0 oIdx=0 buffer=0 iui=0
v_mfma_f32_16x16x32_bf8_bf8 a[172+0:175+0], v[vgprValuB_X3_I0+10+0+0:vgprValuB_X3_I0+10+0+0+1], v[vgprValuA_X3_I0+6+0+0:vgprValuA_X3_I0+6+0+0+1], a[172:175]
/*  mfmaIndex:213  */
_ds_load_b64 v[vgprValuB_X0_I0+2:vgprValuB_X0_I0+2+1], v[vgprLocalReadAddrB] offset:4352 // L -> Reg lro=0 swapByteOffset=0 ti=32 vIdx=1 rIdx=0 oIdx=0 buffer=0 iui=0
v_mfma_f32_16x16x32_bf8_bf8 a[168+0:171+0], v[vgprValuB_X3_I0+10+0+0:vgprValuB_X3_I0+10+0+0+1], v[vgprValuA_X3_I0+4+0+0:vgprValuA_X3_I0+4+0+0+1], a[168:171]
/*  mfmaIndex:214  */
_ds_load_b64 v[vgprValuB_X0_I0+4:vgprValuB_X0_I0+4+1], v[vgprLocalReadAddrB] offset:8704 // L -> Reg lro=0 swapByteOffset=0 ti=32 vIdx=2 rIdx=0 oIdx=0 buffer=0 iui=0
v_mfma_f32_16x16x32_bf8_bf8 a[164+0:167+0], v[vgprValuB_X3_I0+10+0+0:vgprValuB_X3_I0+10+0+0+1], v[vgprValuA_X3_I0+2+0+0:vgprValuA_X3_I0+2+0+0+1], a[164:167]
/*  mfmaIndex:215  */
_ds_load_b64 v[vgprValuB_X0_I0+6:vgprValuB_X0_I0+6+1], v[vgprLocalReadAddrB] offset:13056 // L -> Reg lro=0 swapByteOffset=0 ti=32 vIdx=3 rIdx=0 oIdx=0 buffer=0 iui=0
v_mfma_f32_16x16x32_bf8_bf8 a[160+0:163+0], v[vgprValuB_X3_I0+10+0+0:vgprValuB_X3_I0+10+0+0+1], v[vgprValuA_X3_I0+0+0+0:vgprValuA_X3_I0+0+0+0+1], a[160:163]
/*  mfmaIndex:216  */
_ds_load_b64 v[vgprValuB_X0_I0+8:vgprValuB_X0_I0+8+1], v[vgprLocalReadAddrB] offset:17408 // L -> Reg lro=0 swapByteOffset=0 ti=32 vIdx=4 rIdx=0 oIdx=0 buffer=0 iui=0
v_mfma_f32_16x16x32_bf8_bf8 a[192+0:195+0], v[vgprValuB_X3_I0+12+0+0:vgprValuB_X3_I0+12+0+0+1], v[vgprValuA_X3_I0+0+0+0:vgprValuA_X3_I0+0+0+0+1], a[192:195]
/*  mfmaIndex:217  */
_ds_load_b64 v[vgprValuB_X0_I0+10:vgprValuB_X0_I0+10+1], v[vgprLocalReadAddrB] offset:21760 // L -> Reg lro=0 swapByteOffset=0 ti=32 vIdx=5 rIdx=0 oIdx=0 buffer=0 iui=0
v_mfma_f32_16x16x32_bf8_bf8 a[196+0:199+0], v[vgprValuB_X3_I0+12+0+0:vgprValuB_X3_I0+12+0+0+1], v[vgprValuA_X3_I0+2+0+0:vgprValuA_X3_I0+2+0+0+1], a[196:199]
/*  mfmaIndex:218  */
_ds_load_b64 v[vgprValuB_X0_I0+12:vgprValuB_X0_I0+12+1], v[vgprLocalReadAddrB] offset:26112 // L -> Reg lro=0 swapByteOffset=0 ti=32 vIdx=6 rIdx=0 oIdx=0 buffer=0 iui=0
v_mfma_f32_16x16x32_bf8_bf8 a[200+0:203+0], v[vgprValuB_X3_I0+12+0+0:vgprValuB_X3_I0+12+0+0+1], v[vgprValuA_X3_I0+4+0+0:vgprValuA_X3_I0+4+0+0+1], a[200:203]
/*  mfmaIndex:219  */
v_mfma_f32_16x16x32_bf8_bf8 a[204+0:207+0], v[vgprValuB_X3_I0+12+0+0:vgprValuB_X3_I0+12+0+0+1], v[vgprValuA_X3_I0+6+0+0:vgprValuA_X3_I0+6+0+0+1], a[204:207]
/*  mfmaIndex:220  */
	;; [unrolled: 2-line block ×5, first 2 shown]
v_mfma_f32_16x16x32_bf8_bf8 a[220+0:223+0], v[vgprValuB_X3_I0+12+0+0:vgprValuB_X3_I0+12+0+0+1], v[vgprValuA_X3_I0+14+0+0:vgprValuA_X3_I0+14+0+0+1], a[220:223]
s_setprio 0                                        // store optimization


/******************************************/
/* Unrolled Loop - End 1/2                */
/******************************************/


/* closeLoop loopL finalLoop=0 tailLoop=0 */
s_sub_u32 s[sgprLoopCounterL], s[sgprLoopCounterL], 1 // dec counterL
s_cmp_eq_i32 s[sgprLoopCounterL], 0x2              // counterL==2
s_cbranch_scc1 LoopEndL_oddexit_3                  // exit LoopL


/******************************************/
/* Unrolled Loop 2/2 - Begin              */
/******************************************/

label_0016: // LoopCopy2 


/* Begin Each Unroll: Check VGPR.checkin for INT8 LW */


	;; [unrolled: 1-line block ×3, first 2 shown]
/* iter 0 */

/*  grEndMfmaIndex:18, lwStartMfmaIndex:52, lwEndMfmaIndex:198  */
/*  numMfmaForLR:20, barrierMfmaIndex:203, LocalWritePerMfma:0.405 */
/*  mfmaIndex:0  */
s_waitcnt lgkmcnt(0)                               // lgkmcnt=0 vmcnt=-1wait for prior local read local write old=0, new=0 newLW=0 newLR=0
v_mfma_f32_16x16x32_bf8_bf8 a[0+0:3+0], v[vgprValuB_X0_I0+0+0+0:vgprValuB_X0_I0+0+0+0+1], v[vgprValuA_X0_I0+0+0+0:vgprValuA_X0_I0+0+0+0+1], a[0:3]
/*  mfmaIndex:1  */
_ds_load_b64 v[vgprValuA_X1_I0+0:vgprValuA_X1_I0+0+1], v[vgprLocalReadAddrA] offset:32 // L -> Reg lro=32 swapByteOffset=0 ti=256 vIdx=0 rIdx=0 oIdx=0 buffer=1 iui=0

/* global read inc A loopL */
s_cmp_eq_u32 s[sgprLoopCounterL], s[sgprStaggerUIter] // Is this the wrapIter?
v_mfma_f32_16x16x32_bf8_bf8 a[4+0:7+0], v[vgprValuB_X0_I0+0+0+0:vgprValuB_X0_I0+0+0+0+1], v[vgprValuA_X0_I0+2+0+0:vgprValuA_X0_I0+2+0+0+1], a[4:7]
/*  mfmaIndex:2  */
_ds_load_b64 v[vgprValuB_X1_I0+0:vgprValuB_X1_I0+0+1], v[vgprLocalReadAddrB] offset:32 // L -> Reg lro=32 swapByteOffset=0 ti=32 vIdx=0 rIdx=0 oIdx=0 buffer=1 iui=0
s_cselect_b32 s56, s[sgprWrapUA+0], s[sgprGlobalReadIncsA+0] // incLower <- ?
v_mfma_f32_16x16x32_bf8_bf8 a[8+0:11+0], v[vgprValuB_X0_I0+0+0+0:vgprValuB_X0_I0+0+0+0+1], v[vgprValuA_X0_I0+4+0+0:vgprValuA_X0_I0+4+0+0+1], a[8:11]
/*  mfmaIndex:3  */
_ds_load_b64 v[vgprValuA_X1_I0+2:vgprValuA_X1_I0+2+1], v[vgprLocalReadAddrA] offset:160 // L -> Reg lro=32 swapByteOffset=0 ti=256 vIdx=0 rIdx=0 oIdx=0 buffer=1 iui=0
s_cselect_b32 s57, s[sgprWrapUA+1], 0              // incUpper <- ?
v_mfma_f32_16x16x32_bf8_bf8 a[12+0:15+0], v[vgprValuB_X0_I0+0+0+0:vgprValuB_X0_I0+0+0+0+1], v[vgprValuA_X0_I0+6+0+0:vgprValuA_X0_I0+6+0+0+1], a[12:15]
/*  mfmaIndex:4  */
_ds_load_b64 v[vgprValuA_X1_I0+4:vgprValuA_X1_I0+4+1], v[vgprLocalReadAddrA] offset:288 // L -> Reg lro=32 swapByteOffset=0 ti=256 vIdx=0 rIdx=0 oIdx=0 buffer=1 iui=0
s_add_u32 s[sgprSrdA+0], s[sgprSrdA+0], s56        // gra SRD += inc(lower)
v_mfma_f32_16x16x32_bf8_bf8 a[16+0:19+0], v[vgprValuB_X0_I0+0+0+0:vgprValuB_X0_I0+0+0+0+1], v[vgprValuA_X0_I0+8+0+0:vgprValuA_X0_I0+8+0+0+1], a[16:19]
/*  mfmaIndex:5  */
_ds_load_b64 v[vgprValuA_X1_I0+6:vgprValuA_X1_I0+6+1], v[vgprLocalReadAddrA] offset:416 // L -> Reg lro=32 swapByteOffset=0 ti=256 vIdx=0 rIdx=0 oIdx=0 buffer=1 iui=0
s_addc_u32  s[sgprSrdA+1], s[sgprSrdA+1], s57      // gra SRD += inc(upper)
v_mfma_f32_16x16x32_bf8_bf8 a[20+0:23+0], v[vgprValuB_X0_I0+0+0+0:vgprValuB_X0_I0+0+0+0+1], v[vgprValuA_X0_I0+10+0+0:vgprValuA_X0_I0+10+0+0+1], a[20:23]
/*  mfmaIndex:6  */
_ds_load_b64 v[vgprValuA_X1_I0+8:vgprValuA_X1_I0+8+1], v[vgprLocalReadAddrA] offset:544 // L -> Reg lro=32 swapByteOffset=0 ti=256 vIdx=0 rIdx=0 oIdx=0 buffer=1 iui=0
s_sub_u32 s[sgprShadowLimitA+0], s[sgprShadowLimitA+0], s56 // limit -= inc)
v_mfma_f32_16x16x32_bf8_bf8 a[24+0:27+0], v[vgprValuB_X0_I0+0+0+0:vgprValuB_X0_I0+0+0+0+1], v[vgprValuA_X0_I0+12+0+0:vgprValuA_X0_I0+12+0+0+1], a[24:27]
/*  mfmaIndex:7  */
_ds_load_b64 v[vgprValuA_X1_I0+10:vgprValuA_X1_I0+10+1], v[vgprLocalReadAddrA] offset:672 // L -> Reg lro=32 swapByteOffset=0 ti=256 vIdx=0 rIdx=0 oIdx=0 buffer=1 iui=0
s_subb_u32 s[sgprShadowLimitA+1], s[sgprShadowLimitA+1], s57 // limit -= inc)
v_mfma_f32_16x16x32_bf8_bf8 a[28+0:31+0], v[vgprValuB_X0_I0+0+0+0:vgprValuB_X0_I0+0+0+0+1], v[vgprValuA_X0_I0+14+0+0:vgprValuA_X0_I0+14+0+0+1], a[28:31]
/*  mfmaIndex:8  */
_ds_load_b64 v[vgprValuA_X1_I0+12:vgprValuA_X1_I0+12+1], v[vgprLocalReadAddrA] offset:800 // L -> Reg lro=32 swapByteOffset=0 ti=256 vIdx=0 rIdx=0 oIdx=0 buffer=1 iui=0
s_cmp_eq_u32 s[sgprShadowLimitA+1], 0              // are we within 2^32?
v_mfma_f32_16x16x32_bf8_bf8 a[60+0:63+0], v[vgprValuB_X0_I0+2+0+0:vgprValuB_X0_I0+2+0+0+1], v[vgprValuA_X0_I0+14+0+0:vgprValuA_X0_I0+14+0+0+1], a[60:63]
/*  mfmaIndex:9  */
_ds_load_b64 v[vgprValuA_X1_I0+14:vgprValuA_X1_I0+14+1], v[vgprLocalReadAddrA] offset:928 // L -> Reg lro=32 swapByteOffset=0 ti=256 vIdx=0 rIdx=0 oIdx=0 buffer=1 iui=0
s_cselect_b32 s[sgprSrdA+2], s[sgprShadowLimitA+0], BufferLimitA // Move shadow to real if we are within 2^32
v_mfma_f32_16x16x32_bf8_bf8 a[56+0:59+0], v[vgprValuB_X0_I0+2+0+0:vgprValuB_X0_I0+2+0+0+1], v[vgprValuA_X0_I0+12+0+0:vgprValuA_X0_I0+12+0+0+1], a[56:59]
/*  mfmaIndex:10  */
_ds_load_b64 v[vgprValuB_X1_I0+2:vgprValuB_X1_I0+2+1], v[vgprLocalReadAddrB] offset:4384 // L -> Reg lro=32 swapByteOffset=0 ti=32 vIdx=1 rIdx=0 oIdx=0 buffer=1 iui=0

/* global read inc B loopL */
s_cmp_eq_u32 s[sgprLoopCounterL], s[sgprStaggerUIter] // Is this the wrapIter?
v_mfma_f32_16x16x32_bf8_bf8 a[52+0:55+0], v[vgprValuB_X0_I0+2+0+0:vgprValuB_X0_I0+2+0+0+1], v[vgprValuA_X0_I0+10+0+0:vgprValuA_X0_I0+10+0+0+1], a[52:55]
/*  mfmaIndex:11  */
_ds_load_b64 v[vgprValuB_X1_I0+4:vgprValuB_X1_I0+4+1], v[vgprLocalReadAddrB] offset:8736 // L -> Reg lro=32 swapByteOffset=0 ti=32 vIdx=2 rIdx=0 oIdx=0 buffer=1 iui=0
s_cselect_b32 s56, s[sgprWrapUB+0], s[sgprGlobalReadIncsB+0] // incLower <- ?
v_mfma_f32_16x16x32_bf8_bf8 a[48+0:51+0], v[vgprValuB_X0_I0+2+0+0:vgprValuB_X0_I0+2+0+0+1], v[vgprValuA_X0_I0+8+0+0:vgprValuA_X0_I0+8+0+0+1], a[48:51]
/*  mfmaIndex:12  */
_ds_load_b64 v[vgprValuB_X1_I0+6:vgprValuB_X1_I0+6+1], v[vgprLocalReadAddrB] offset:13088 // L -> Reg lro=32 swapByteOffset=0 ti=32 vIdx=3 rIdx=0 oIdx=0 buffer=1 iui=0
s_cselect_b32 s57, s[sgprWrapUB+1], 0              // incUpper <- ?
v_mfma_f32_16x16x32_bf8_bf8 a[44+0:47+0], v[vgprValuB_X0_I0+2+0+0:vgprValuB_X0_I0+2+0+0+1], v[vgprValuA_X0_I0+6+0+0:vgprValuA_X0_I0+6+0+0+1], a[44:47]
/*  mfmaIndex:13  */
_ds_load_b64 v[vgprValuB_X1_I0+8:vgprValuB_X1_I0+8+1], v[vgprLocalReadAddrB] offset:17440 // L -> Reg lro=32 swapByteOffset=0 ti=32 vIdx=4 rIdx=0 oIdx=0 buffer=1 iui=0
s_add_u32 s[sgprSrdB+0], s[sgprSrdB+0], s56        // gra SRD += inc(lower)
v_mfma_f32_16x16x32_bf8_bf8 a[40+0:43+0], v[vgprValuB_X0_I0+2+0+0:vgprValuB_X0_I0+2+0+0+1], v[vgprValuA_X0_I0+4+0+0:vgprValuA_X0_I0+4+0+0+1], a[40:43]
/*  mfmaIndex:14  */
_ds_load_b64 v[vgprValuB_X1_I0+10:vgprValuB_X1_I0+10+1], v[vgprLocalReadAddrB] offset:21792 // L -> Reg lro=32 swapByteOffset=0 ti=32 vIdx=5 rIdx=0 oIdx=0 buffer=1 iui=0
s_addc_u32  s[sgprSrdB+1], s[sgprSrdB+1], s57      // gra SRD += inc(upper)
v_mfma_f32_16x16x32_bf8_bf8 a[36+0:39+0], v[vgprValuB_X0_I0+2+0+0:vgprValuB_X0_I0+2+0+0+1], v[vgprValuA_X0_I0+2+0+0:vgprValuA_X0_I0+2+0+0+1], a[36:39]
/*  mfmaIndex:15  */
_ds_load_b64 v[vgprValuB_X1_I0+12:vgprValuB_X1_I0+12+1], v[vgprLocalReadAddrB] offset:26144 // L -> Reg lro=32 swapByteOffset=0 ti=32 vIdx=6 rIdx=0 oIdx=0 buffer=1 iui=0
s_sub_u32 s[sgprShadowLimitB+0], s[sgprShadowLimitB+0], s56 // limit -= inc)
v_mfma_f32_16x16x32_bf8_bf8 a[32+0:35+0], v[vgprValuB_X0_I0+2+0+0:vgprValuB_X0_I0+2+0+0+1], v[vgprValuA_X0_I0+0+0+0:vgprValuA_X0_I0+0+0+0+1], a[32:35]
/*  mfmaIndex:16  */
/* localReadsVacancy: latencyLeft 2 */
_ds_load_b64 v[vgprValuA_X2_I0+0:vgprValuA_X2_I0+0+1], v[vgprLocalReadAddrA] offset:64 // L -> Reg lro=64 swapByteOffset=0 ti=256 vIdx=0 rIdx=0 oIdx=0 buffer=2 iui=0
s_subb_u32 s[sgprShadowLimitB+1], s[sgprShadowLimitB+1], s57 // limit -= inc)
v_mfma_f32_16x16x32_bf8_bf8 a[64+0:67+0], v[vgprValuB_X0_I0+4+0+0:vgprValuB_X0_I0+4+0+0+1], v[vgprValuA_X0_I0+0+0+0:vgprValuA_X0_I0+0+0+0+1], a[64:67]
/*  mfmaIndex:17  */
/* localReadsVacancy: latencyLeft 2 */
_ds_load_b64 v[vgprValuB_X2_I0+0:vgprValuB_X2_I0+0+1], v[vgprLocalReadAddrB] offset:64 // L -> Reg lro=64 swapByteOffset=0 ti=32 vIdx=0 rIdx=0 oIdx=0 buffer=2 iui=0
s_cmp_eq_u32 s[sgprShadowLimitB+1], 0              // are we within 2^32?
v_mfma_f32_16x16x32_bf8_bf8 a[68+0:71+0], v[vgprValuB_X0_I0+4+0+0:vgprValuB_X0_I0+4+0+0+1], v[vgprValuA_X0_I0+2+0+0:vgprValuA_X0_I0+2+0+0+1], a[68:71]
/*  mfmaIndex:18  */
/* localReadsVacancy: latencyLeft 2 */
_ds_load_b64 v[vgprValuA_X2_I0+2:vgprValuA_X2_I0+2+1], v[vgprLocalReadAddrA] offset:192 // L -> Reg lro=64 swapByteOffset=0 ti=256 vIdx=0 rIdx=0 oIdx=0 buffer=2 iui=0
s_cselect_b32 s[sgprSrdB+2], s[sgprShadowLimitB+0], BufferLimitB // Move shadow to real if we are within 2^32
v_mfma_f32_16x16x32_bf8_bf8 a[72+0:75+0], v[vgprValuB_X0_I0+4+0+0:vgprValuB_X0_I0+4+0+0+1], v[vgprValuA_X0_I0+4+0+0:vgprValuA_X0_I0+4+0+0+1], a[72:75]
/*  mfmaIndex:19  */
/* localReadsVacancy: latencyLeft 2 */
_ds_load_b64 v[vgprValuA_X2_I0+4:vgprValuA_X2_I0+4+1], v[vgprLocalReadAddrA] offset:320 // L -> Reg lro=64 swapByteOffset=0 ti=256 vIdx=0 rIdx=0 oIdx=0 buffer=2 iui=0
v_mfma_f32_16x16x32_bf8_bf8 a[76+0:79+0], v[vgprValuB_X0_I0+4+0+0:vgprValuB_X0_I0+4+0+0+1], v[vgprValuA_X0_I0+6+0+0:vgprValuA_X0_I0+6+0+0+1], a[76:79]
/*  mfmaIndex:20  */
/* localReadsVacancy: latencyLeft 2 */
_ds_load_b64 v[vgprValuA_X2_I0+6:vgprValuA_X2_I0+6+1], v[vgprLocalReadAddrA] offset:448 // L -> Reg lro=64 swapByteOffset=0 ti=256 vIdx=0 rIdx=0 oIdx=0 buffer=2 iui=0
	;; [unrolled: 4-line block ×6, first 2 shown]
v_mfma_f32_16x16x32_bf8_bf8 a[124+0:127+0], v[vgprValuB_X0_I0+6+0+0:vgprValuB_X0_I0+6+0+0+1], v[vgprValuA_X0_I0+14+0+0:vgprValuA_X0_I0+14+0+0+1], a[124:127]
/*  mfmaIndex:25  */
/* localReadsVacancy: latencyLeft 2 */
_ds_load_b64 v[vgprValuB_X2_I0+2:vgprValuB_X2_I0+2+1], v[vgprLocalReadAddrB] offset:4416 // L -> Reg lro=64 swapByteOffset=0 ti=32 vIdx=1 rIdx=0 oIdx=0 buffer=2 iui=0
v_mfma_f32_16x16x32_bf8_bf8 a[120+0:123+0], v[vgprValuB_X0_I0+6+0+0:vgprValuB_X0_I0+6+0+0+1], v[vgprValuA_X0_I0+12+0+0:vgprValuA_X0_I0+12+0+0+1], a[120:123]
/*  mfmaIndex:26  */
/* localReadsVacancy: latencyLeft 2 */
_ds_load_b64 v[vgprValuB_X2_I0+4:vgprValuB_X2_I0+4+1], v[vgprLocalReadAddrB] offset:8768 // L -> Reg lro=64 swapByteOffset=0 ti=32 vIdx=2 rIdx=0 oIdx=0 buffer=2 iui=0
	;; [unrolled: 4-line block ×6, first 2 shown]
v_mfma_f32_16x16x32_bf8_bf8 a[100+0:103+0], v[vgprValuB_X0_I0+6+0+0:vgprValuB_X0_I0+6+0+0+1], v[vgprValuA_X0_I0+2+0+0:vgprValuA_X0_I0+2+0+0+1], a[100:103]
/*  mfmaIndex:31  */
/* localReadsVacancy: latencyLeft 2 */
_ds_load_b64 v[vgprValuA_X3_I0+0:vgprValuA_X3_I0+0+1], v[vgprLocalReadAddrA] offset:96 // L -> Reg lro=96 swapByteOffset=0 ti=256 vIdx=0 rIdx=0 oIdx=0 buffer=3 iui=0
v_mfma_f32_16x16x32_bf8_bf8 a[96+0:99+0], v[vgprValuB_X0_I0+6+0+0:vgprValuB_X0_I0+6+0+0+1], v[vgprValuA_X0_I0+0+0+0:vgprValuA_X0_I0+0+0+0+1], a[96:99]
/*  mfmaIndex:32  */
/* localReadsVacancy: latencyLeft 2 */
_ds_load_b64 v[vgprValuB_X3_I0+0:vgprValuB_X3_I0+0+1], v[vgprLocalReadAddrB] offset:96 // L -> Reg lro=96 swapByteOffset=0 ti=32 vIdx=0 rIdx=0 oIdx=0 buffer=3 iui=0
v_mfma_f32_16x16x32_bf8_bf8 a[128+0:131+0], v[vgprValuB_X0_I0+8+0+0:vgprValuB_X0_I0+8+0+0+1], v[vgprValuA_X0_I0+0+0+0:vgprValuA_X0_I0+0+0+0+1], a[128:131]
/*  mfmaIndex:33  */
/* localReadsVacancy: latencyLeft 2 */
_ds_load_b64 v[vgprValuA_X3_I0+2:vgprValuA_X3_I0+2+1], v[vgprLocalReadAddrA] offset:224 // L -> Reg lro=96 swapByteOffset=0 ti=256 vIdx=0 rIdx=0 oIdx=0 buffer=3 iui=0
v_mfma_f32_16x16x32_bf8_bf8 a[132+0:135+0], v[vgprValuB_X0_I0+8+0+0:vgprValuB_X0_I0+8+0+0+1], v[vgprValuA_X0_I0+2+0+0:vgprValuA_X0_I0+2+0+0+1], a[132:135]
/*  mfmaIndex:34  */
/* localReadsVacancy: latencyLeft 2 */
_ds_load_b64 v[vgprValuA_X3_I0+4:vgprValuA_X3_I0+4+1], v[vgprLocalReadAddrA] offset:352 // L -> Reg lro=96 swapByteOffset=0 ti=256 vIdx=0 rIdx=0 oIdx=0 buffer=3 iui=0
	;; [unrolled: 4-line block ×7, first 2 shown]
v_mfma_f32_16x16x32_bf8_bf8 a[156+0:159+0], v[vgprValuB_X0_I0+8+0+0:vgprValuB_X0_I0+8+0+0+1], v[vgprValuA_X0_I0+14+0+0:vgprValuA_X0_I0+14+0+0+1], a[156:159]
/*  mfmaIndex:40  */
/* localReadsVacancy: latencyLeft 2 */
_ds_load_b64 v[vgprValuB_X3_I0+2:vgprValuB_X3_I0+2+1], v[vgprLocalReadAddrB] offset:4448 // L -> Reg lro=96 swapByteOffset=0 ti=32 vIdx=1 rIdx=0 oIdx=0 buffer=3 iui=0
v_mfma_f32_16x16x32_bf8_bf8 a[188+0:191+0], v[vgprValuB_X0_I0+10+0+0:vgprValuB_X0_I0+10+0+0+1], v[vgprValuA_X0_I0+14+0+0:vgprValuA_X0_I0+14+0+0+1], a[188:191]
/*  mfmaIndex:41  */
/* localReadsVacancy: latencyLeft 2 */
_ds_load_b64 v[vgprValuB_X3_I0+4:vgprValuB_X3_I0+4+1], v[vgprLocalReadAddrB] offset:8800 // L -> Reg lro=96 swapByteOffset=0 ti=32 vIdx=2 rIdx=0 oIdx=0 buffer=3 iui=0
	;; [unrolled: 4-line block ×6, first 2 shown]
v_mfma_f32_16x16x32_bf8_bf8 a[168+0:171+0], v[vgprValuB_X0_I0+10+0+0:vgprValuB_X0_I0+10+0+0+1], v[vgprValuA_X0_I0+4+0+0:vgprValuA_X0_I0+4+0+0+1], a[168:171]
/*  mfmaIndex:46  */
/* localReadsVacancy: latencyLeft 2 */
v_mfma_f32_16x16x32_bf8_bf8 a[164+0:167+0], v[vgprValuB_X0_I0+10+0+0:vgprValuB_X0_I0+10+0+0+1], v[vgprValuA_X0_I0+2+0+0:vgprValuA_X0_I0+2+0+0+1], a[164:167]
/*  mfmaIndex:47  */
/* localReadsVacancy: latencyLeft 2 */
	;; [unrolled: 3-line block ×6, first 2 shown]
/* 1 LDS buffer: read-sync-write */
s_waitcnt lgkmcnt(0)                               // 
s_barrier                                          // 
v_mfma_f32_16x16x32_bf8_bf8 a[204+0:207+0], v[vgprValuB_X0_I0+12+0+0:vgprValuB_X0_I0+12+0+0+1], v[vgprValuA_X0_I0+6+0+0:vgprValuA_X0_I0+6+0+0+1], a[204:207]
/*  mfmaIndex:52  */
s_setprio 3                                        // store optimization
/* sched write - iter 0 writesPerItem=1 */
s_waitcnt vmcnt(0)                                 // lgkmcnt=-1 vmcnt=0wait for global read before writing to local
_ds_store_b32 v[vgprLocalWriteAddrA], v[vgprG2LA+0] offset:0 // lwoA_0_0_0_0 = (0*LSCA)*(MT0I+PAD) + (0*LSPA) = 0
v_mfma_f32_16x16x32_bf8_bf8 a[208+0:211+0], v[vgprValuB_X0_I0+12+0+0:vgprValuB_X0_I0+12+0+0+1], v[vgprValuA_X0_I0+8+0+0:vgprValuA_X0_I0+8+0+0+1], a[208:211]
/*  mfmaIndex:53  */
_buffer_load_b32 v[vgprG2LA+0], v[vgprGlobalReadOffsetA+0], s[sgprSrdA:sgprSrdA+3], 0, offen offset:0 // G -> Reg 0_0_0_0
v_mfma_f32_16x16x32_bf8_bf8 a[212+0:215+0], v[vgprValuB_X0_I0+12+0+0:vgprValuB_X0_I0+12+0+0+1], v[vgprValuA_X0_I0+10+0+0:vgprValuA_X0_I0+10+0+0+1], a[212:215]
/*  mfmaIndex:54  */
/* sched write - iter 0 writesPerItem=1 */
s_waitcnt vmcnt(0)                                 // lgkmcnt=-1 vmcnt=0wait for global read before writing to local
_ds_store_b32 v[vgprLocalWriteAddrA], v[vgprG2LA+1] offset:1032 // lwoA_0_0_1_0 = (0*LSCA)*(MT0I+PAD) + (1*LSPA) = 1032
v_mfma_f32_16x16x32_bf8_bf8 a[216+0:219+0], v[vgprValuB_X0_I0+12+0+0:vgprValuB_X0_I0+12+0+0+1], v[vgprValuA_X0_I0+12+0+0:vgprValuA_X0_I0+12+0+0+1], a[216:219]
/*  mfmaIndex:55  */
_buffer_load_b32 v[vgprG2LA+1], v[vgprGlobalReadOffsetA+1], s[sgprSrdA:sgprSrdA+3], 0, offen offset:0 // G -> Reg 0_0_1_0
v_mfma_f32_16x16x32_bf8_bf8 a[220+0:223+0], v[vgprValuB_X0_I0+12+0+0:vgprValuB_X0_I0+12+0+0+1], v[vgprValuA_X0_I0+14+0+0:vgprValuA_X0_I0+14+0+0+1], a[220:223]
/* numPrefetchIter=0 */
/* dataAtIterA=-1 numReadsIterA=1 skipReadsIterA=1 readsPerIterA=8 */
/* dataAtIterB=-1 numReadsIterB=1 skipReadsIterB=1 readsPerIterB=7 */


/* iter 1 */

/*  grEndMfmaIndex:18, lwStartMfmaIndex:52, lwEndMfmaIndex:198  */
/*  numMfmaForLR:20, barrierMfmaIndex:203, LocalWritePerMfma:0.405 */
/*  mfmaIndex:56  */
/* sched write - iter 1 writesPerItem=1 */
s_waitcnt vmcnt(0)                                 // lgkmcnt=-1 vmcnt=0wait for global read before writing to local
_ds_store_b32 v[vgprLocalWriteAddrA], v[vgprG2LA+2] offset:2064 // lwoA_0_0_2_0 = (0*LSCA)*(MT0I+PAD) + (2*LSPA) = 2064
v_mfma_f32_16x16x32_bf8_bf8 a[0+0:3+0], v[vgprValuB_X1_I0+0+0+0:vgprValuB_X1_I0+0+0+0+1], v[vgprValuA_X1_I0+0+0+0:vgprValuA_X1_I0+0+0+0+1], a[0:3]
/*  mfmaIndex:57  */
_buffer_load_b32 v[vgprG2LA+2], v[vgprGlobalReadOffsetA+2], s[sgprSrdA:sgprSrdA+3], 0, offen offset:0 // G -> Reg 0_0_2_0
v_mfma_f32_16x16x32_bf8_bf8 a[4+0:7+0], v[vgprValuB_X1_I0+0+0+0:vgprValuB_X1_I0+0+0+0+1], v[vgprValuA_X1_I0+2+0+0:vgprValuA_X1_I0+2+0+0+1], a[4:7]
/*  mfmaIndex:58  */
v_mfma_f32_16x16x32_bf8_bf8 a[8+0:11+0], v[vgprValuB_X1_I0+0+0+0:vgprValuB_X1_I0+0+0+0+1], v[vgprValuA_X1_I0+4+0+0:vgprValuA_X1_I0+4+0+0+1], a[8:11]
/*  mfmaIndex:59  */
/* sched write - iter 1 writesPerItem=1 */
s_waitcnt vmcnt(0)                                 // lgkmcnt=-1 vmcnt=0wait for global read before writing to local
_ds_store_b32 v[vgprLocalWriteAddrA], v[vgprG2LA+3] offset:3096 // lwoA_0_0_3_0 = (0*LSCA)*(MT0I+PAD) + (3*LSPA) = 3096
v_mfma_f32_16x16x32_bf8_bf8 a[12+0:15+0], v[vgprValuB_X1_I0+0+0+0:vgprValuB_X1_I0+0+0+0+1], v[vgprValuA_X1_I0+6+0+0:vgprValuA_X1_I0+6+0+0+1], a[12:15]
/*  mfmaIndex:60  */
_buffer_load_b32 v[vgprG2LA+3], v[vgprGlobalReadOffsetA+3], s[sgprSrdA:sgprSrdA+3], 0, offen offset:0 // G -> Reg 0_0_3_0
v_mfma_f32_16x16x32_bf8_bf8 a[16+0:19+0], v[vgprValuB_X1_I0+0+0+0:vgprValuB_X1_I0+0+0+0+1], v[vgprValuA_X1_I0+8+0+0:vgprValuA_X1_I0+8+0+0+1], a[16:19]
/*  mfmaIndex:61  */
/* sched write - iter 1 writesPerItem=1 */
s_waitcnt vmcnt(0)                                 // lgkmcnt=-1 vmcnt=0wait for global read before writing to local
_ds_store_b32 v[vgprLocalWriteAddrA], v[vgprG2LA+4] offset:4128 // lwoA_0_0_4_0 = (0*LSCA)*(MT0I+PAD) + (4*LSPA) = 4128
v_mfma_f32_16x16x32_bf8_bf8 a[20+0:23+0], v[vgprValuB_X1_I0+0+0+0:vgprValuB_X1_I0+0+0+0+1], v[vgprValuA_X1_I0+10+0+0:vgprValuA_X1_I0+10+0+0+1], a[20:23]
/*  mfmaIndex:62  */
_buffer_load_b32 v[vgprG2LA+4], v[vgprGlobalReadOffsetA+4], s[sgprSrdA:sgprSrdA+3], 0, offen offset:0 // G -> Reg 0_0_4_0
v_mfma_f32_16x16x32_bf8_bf8 a[24+0:27+0], v[vgprValuB_X1_I0+0+0+0:vgprValuB_X1_I0+0+0+0+1], v[vgprValuA_X1_I0+12+0+0:vgprValuA_X1_I0+12+0+0+1], a[24:27]
/*  mfmaIndex:63  */
v_mfma_f32_16x16x32_bf8_bf8 a[28+0:31+0], v[vgprValuB_X1_I0+0+0+0:vgprValuB_X1_I0+0+0+0+1], v[vgprValuA_X1_I0+14+0+0:vgprValuA_X1_I0+14+0+0+1], a[28:31]
/*  mfmaIndex:64  */
/* sched write - iter 1 writesPerItem=1 */
s_waitcnt vmcnt(0)                                 // lgkmcnt=-1 vmcnt=0wait for global read before writing to local
_ds_store_b32 v[vgprLocalWriteAddrA], v[vgprG2LA+5] offset:5160 // lwoA_0_0_5_0 = (0*LSCA)*(MT0I+PAD) + (5*LSPA) = 5160
v_mfma_f32_16x16x32_bf8_bf8 a[60+0:63+0], v[vgprValuB_X1_I0+2+0+0:vgprValuB_X1_I0+2+0+0+1], v[vgprValuA_X1_I0+14+0+0:vgprValuA_X1_I0+14+0+0+1], a[60:63]
/*  mfmaIndex:65  */
_buffer_load_b32 v[vgprG2LA+5], v[vgprGlobalReadOffsetA+5], s[sgprSrdA:sgprSrdA+3], 0, offen offset:0 // G -> Reg 0_0_5_0
v_mfma_f32_16x16x32_bf8_bf8 a[56+0:59+0], v[vgprValuB_X1_I0+2+0+0:vgprValuB_X1_I0+2+0+0+1], v[vgprValuA_X1_I0+12+0+0:vgprValuA_X1_I0+12+0+0+1], a[56:59]
/*  mfmaIndex:66  */
/* sched write - iter 1 writesPerItem=1 */
s_waitcnt vmcnt(0)                                 // lgkmcnt=-1 vmcnt=0wait for global read before writing to local
_ds_store_b32 v[vgprLocalWriteAddrA], v[vgprG2LA+6] offset:6192 // lwoA_0_0_6_0 = (0*LSCA)*(MT0I+PAD) + (6*LSPA) = 6192
v_mfma_f32_16x16x32_bf8_bf8 a[52+0:55+0], v[vgprValuB_X1_I0+2+0+0:vgprValuB_X1_I0+2+0+0+1], v[vgprValuA_X1_I0+10+0+0:vgprValuA_X1_I0+10+0+0+1], a[52:55]
/*  mfmaIndex:67  */
_buffer_load_b32 v[vgprG2LA+6], v[vgprGlobalReadOffsetA+6], s[sgprSrdA:sgprSrdA+3], 0, offen offset:0 // G -> Reg 0_0_6_0
v_mfma_f32_16x16x32_bf8_bf8 a[48+0:51+0], v[vgprValuB_X1_I0+2+0+0:vgprValuB_X1_I0+2+0+0+1], v[vgprValuA_X1_I0+8+0+0:vgprValuA_X1_I0+8+0+0+1], a[48:51]
/*  mfmaIndex:68  */
v_mfma_f32_16x16x32_bf8_bf8 a[44+0:47+0], v[vgprValuB_X1_I0+2+0+0:vgprValuB_X1_I0+2+0+0+1], v[vgprValuA_X1_I0+6+0+0:vgprValuA_X1_I0+6+0+0+1], a[44:47]
/*  mfmaIndex:69  */
/* sched write - iter 1 writesPerItem=1 */
s_waitcnt vmcnt(0)                                 // lgkmcnt=-1 vmcnt=0wait for global read before writing to local
_ds_store_b32 v[vgprLocalWriteAddrA], v[vgprG2LA+7] offset:7224 // lwoA_0_0_7_0 = (0*LSCA)*(MT0I+PAD) + (7*LSPA) = 7224
v_mfma_f32_16x16x32_bf8_bf8 a[40+0:43+0], v[vgprValuB_X1_I0+2+0+0:vgprValuB_X1_I0+2+0+0+1], v[vgprValuA_X1_I0+4+0+0:vgprValuA_X1_I0+4+0+0+1], a[40:43]
/*  mfmaIndex:70  */
_buffer_load_b32 v[vgprG2LA+7], v[vgprGlobalReadOffsetA+7], s[sgprSrdA:sgprSrdA+3], 0, offen offset:0 // G -> Reg 0_0_7_0
v_mfma_f32_16x16x32_bf8_bf8 a[36+0:39+0], v[vgprValuB_X1_I0+2+0+0:vgprValuB_X1_I0+2+0+0+1], v[vgprValuA_X1_I0+2+0+0:vgprValuA_X1_I0+2+0+0+1], a[36:39]
/*  mfmaIndex:71  */
/* sched write - iter 1 writesPerItem=1 */
s_waitcnt vmcnt(0)                                 // lgkmcnt=-1 vmcnt=0wait for global read before writing to local
_ds_store_b32 v[vgprLocalWriteAddrA], v[vgprG2LA+8] offset:8256 // lwoA_0_0_8_0 = (0*LSCA)*(MT0I+PAD) + (8*LSPA) = 8256
v_mfma_f32_16x16x32_bf8_bf8 a[32+0:35+0], v[vgprValuB_X1_I0+2+0+0:vgprValuB_X1_I0+2+0+0+1], v[vgprValuA_X1_I0+0+0+0:vgprValuA_X1_I0+0+0+0+1], a[32:35]
/*  mfmaIndex:72  */
_buffer_load_b32 v[vgprG2LA+8], v[vgprGlobalReadOffsetA+8], s[sgprSrdA:sgprSrdA+3], 0, offen offset:0 // G -> Reg 0_0_8_0
v_mfma_f32_16x16x32_bf8_bf8 a[64+0:67+0], v[vgprValuB_X1_I0+4+0+0:vgprValuB_X1_I0+4+0+0+1], v[vgprValuA_X1_I0+0+0+0:vgprValuA_X1_I0+0+0+0+1], a[64:67]
/*  mfmaIndex:73  */
v_mfma_f32_16x16x32_bf8_bf8 a[68+0:71+0], v[vgprValuB_X1_I0+4+0+0:vgprValuB_X1_I0+4+0+0+1], v[vgprValuA_X1_I0+2+0+0:vgprValuA_X1_I0+2+0+0+1], a[68:71]
/*  mfmaIndex:74  */
/* sched write - iter 1 writesPerItem=1 */
s_waitcnt vmcnt(0)                                 // lgkmcnt=-1 vmcnt=0wait for global read before writing to local
_ds_store_b32 v[vgprLocalWriteAddrA], v[vgprG2LA+9] offset:9288 // lwoA_0_0_9_0 = (0*LSCA)*(MT0I+PAD) + (9*LSPA) = 9288
v_mfma_f32_16x16x32_bf8_bf8 a[72+0:75+0], v[vgprValuB_X1_I0+4+0+0:vgprValuB_X1_I0+4+0+0+1], v[vgprValuA_X1_I0+4+0+0:vgprValuA_X1_I0+4+0+0+1], a[72:75]
/*  mfmaIndex:75  */
_buffer_load_b32 v[vgprG2LA+9], v[vgprGlobalReadOffsetA+9], s[sgprSrdA:sgprSrdA+3], 0, offen offset:0 // G -> Reg 0_0_9_0
v_mfma_f32_16x16x32_bf8_bf8 a[76+0:79+0], v[vgprValuB_X1_I0+4+0+0:vgprValuB_X1_I0+4+0+0+1], v[vgprValuA_X1_I0+6+0+0:vgprValuA_X1_I0+6+0+0+1], a[76:79]
/*  mfmaIndex:76  */
/* sched write - iter 1 writesPerItem=1 */
s_waitcnt vmcnt(0)                                 // lgkmcnt=-1 vmcnt=0wait for global read before writing to local
_ds_store_b32 v[vgprLocalWriteAddrA], v[vgprG2LA+10] offset:10320 // lwoA_0_0_10_0 = (0*LSCA)*(MT0I+PAD) + (10*LSPA) = 10320
v_mfma_f32_16x16x32_bf8_bf8 a[80+0:83+0], v[vgprValuB_X1_I0+4+0+0:vgprValuB_X1_I0+4+0+0+1], v[vgprValuA_X1_I0+8+0+0:vgprValuA_X1_I0+8+0+0+1], a[80:83]
/*  mfmaIndex:77  */
_buffer_load_b32 v[vgprG2LA+10], v[vgprGlobalReadOffsetA+10], s[sgprSrdA:sgprSrdA+3], 0, offen offset:0 // G -> Reg 0_0_10_0
v_mfma_f32_16x16x32_bf8_bf8 a[84+0:87+0], v[vgprValuB_X1_I0+4+0+0:vgprValuB_X1_I0+4+0+0+1], v[vgprValuA_X1_I0+10+0+0:vgprValuA_X1_I0+10+0+0+1], a[84:87]
/*  mfmaIndex:78  */
v_mfma_f32_16x16x32_bf8_bf8 a[88+0:91+0], v[vgprValuB_X1_I0+4+0+0:vgprValuB_X1_I0+4+0+0+1], v[vgprValuA_X1_I0+12+0+0:vgprValuA_X1_I0+12+0+0+1], a[88:91]
/*  mfmaIndex:79  */
/* sched write - iter 1 writesPerItem=1 */
s_waitcnt vmcnt(0)                                 // lgkmcnt=-1 vmcnt=0wait for global read before writing to local
_ds_store_b32 v[vgprLocalWriteAddrA], v[vgprG2LA+11] offset:11352 // lwoA_0_0_11_0 = (0*LSCA)*(MT0I+PAD) + (11*LSPA) = 11352
v_mfma_f32_16x16x32_bf8_bf8 a[92+0:95+0], v[vgprValuB_X1_I0+4+0+0:vgprValuB_X1_I0+4+0+0+1], v[vgprValuA_X1_I0+14+0+0:vgprValuA_X1_I0+14+0+0+1], a[92:95]
/*  mfmaIndex:80  */
_buffer_load_b32 v[vgprG2LA+11], v[vgprGlobalReadOffsetA+11], s[sgprSrdA:sgprSrdA+3], 0, offen offset:0 // G -> Reg 0_0_11_0
v_mfma_f32_16x16x32_bf8_bf8 a[124+0:127+0], v[vgprValuB_X1_I0+6+0+0:vgprValuB_X1_I0+6+0+0+1], v[vgprValuA_X1_I0+14+0+0:vgprValuA_X1_I0+14+0+0+1], a[124:127]
/*  mfmaIndex:81  */
/* sched write - iter 1 writesPerItem=1 */
s_waitcnt vmcnt(0)                                 // lgkmcnt=-1 vmcnt=0wait for global read before writing to local
_ds_store_b32 v[vgprLocalWriteAddrA], v[vgprG2LA+12] offset:12384 // lwoA_0_0_12_0 = (0*LSCA)*(MT0I+PAD) + (12*LSPA) = 12384
v_mfma_f32_16x16x32_bf8_bf8 a[120+0:123+0], v[vgprValuB_X1_I0+6+0+0:vgprValuB_X1_I0+6+0+0+1], v[vgprValuA_X1_I0+12+0+0:vgprValuA_X1_I0+12+0+0+1], a[120:123]
/*  mfmaIndex:82  */
_buffer_load_b32 v[vgprG2LA+12], v[vgprGlobalReadOffsetA+12], s[sgprSrdA:sgprSrdA+3], 0, offen offset:0 // G -> Reg 0_0_12_0
v_mfma_f32_16x16x32_bf8_bf8 a[116+0:119+0], v[vgprValuB_X1_I0+6+0+0:vgprValuB_X1_I0+6+0+0+1], v[vgprValuA_X1_I0+10+0+0:vgprValuA_X1_I0+10+0+0+1], a[116:119]
/*  mfmaIndex:83  */
v_mfma_f32_16x16x32_bf8_bf8 a[112+0:115+0], v[vgprValuB_X1_I0+6+0+0:vgprValuB_X1_I0+6+0+0+1], v[vgprValuA_X1_I0+8+0+0:vgprValuA_X1_I0+8+0+0+1], a[112:115]
/*  mfmaIndex:84  */
/* sched write - iter 1 writesPerItem=1 */
s_waitcnt vmcnt(0)                                 // lgkmcnt=-1 vmcnt=0wait for global read before writing to local
_ds_store_b32 v[vgprLocalWriteAddrA], v[vgprG2LA+13] offset:13416 // lwoA_0_0_13_0 = (0*LSCA)*(MT0I+PAD) + (13*LSPA) = 13416
v_mfma_f32_16x16x32_bf8_bf8 a[108+0:111+0], v[vgprValuB_X1_I0+6+0+0:vgprValuB_X1_I0+6+0+0+1], v[vgprValuA_X1_I0+6+0+0:vgprValuA_X1_I0+6+0+0+1], a[108:111]
/*  mfmaIndex:85  */
_buffer_load_b32 v[vgprG2LA+13], v[vgprGlobalReadOffsetA+13], s[sgprSrdA:sgprSrdA+3], 0, offen offset:0 // G -> Reg 0_0_13_0
v_mfma_f32_16x16x32_bf8_bf8 a[104+0:107+0], v[vgprValuB_X1_I0+6+0+0:vgprValuB_X1_I0+6+0+0+1], v[vgprValuA_X1_I0+4+0+0:vgprValuA_X1_I0+4+0+0+1], a[104:107]
/*  mfmaIndex:86  */
/* sched write - iter 1 writesPerItem=1 */
s_waitcnt vmcnt(0)                                 // lgkmcnt=-1 vmcnt=0wait for global read before writing to local
_ds_store_b32 v[vgprLocalWriteAddrA], v[vgprG2LA+14] offset:14448 // lwoA_0_0_14_0 = (0*LSCA)*(MT0I+PAD) + (14*LSPA) = 14448
v_mfma_f32_16x16x32_bf8_bf8 a[100+0:103+0], v[vgprValuB_X1_I0+6+0+0:vgprValuB_X1_I0+6+0+0+1], v[vgprValuA_X1_I0+2+0+0:vgprValuA_X1_I0+2+0+0+1], a[100:103]
/*  mfmaIndex:87  */
_buffer_load_b32 v[vgprG2LA+14], v[vgprGlobalReadOffsetA+14], s[sgprSrdA:sgprSrdA+3], 0, offen offset:0 // G -> Reg 0_0_14_0
v_mfma_f32_16x16x32_bf8_bf8 a[96+0:99+0], v[vgprValuB_X1_I0+6+0+0:vgprValuB_X1_I0+6+0+0+1], v[vgprValuA_X1_I0+0+0+0:vgprValuA_X1_I0+0+0+0+1], a[96:99]
/*  mfmaIndex:88  */
v_mfma_f32_16x16x32_bf8_bf8 a[128+0:131+0], v[vgprValuB_X1_I0+8+0+0:vgprValuB_X1_I0+8+0+0+1], v[vgprValuA_X1_I0+0+0+0:vgprValuA_X1_I0+0+0+0+1], a[128:131]
/*  mfmaIndex:89  */
/* sched write - iter 1 writesPerItem=1 */
s_waitcnt vmcnt(0)                                 // lgkmcnt=-1 vmcnt=0wait for global read before writing to local
_ds_store_b32 v[vgprLocalWriteAddrA], v[vgprG2LA+15] offset:15480 // lwoA_0_0_15_0 = (0*LSCA)*(MT0I+PAD) + (15*LSPA) = 15480
v_mfma_f32_16x16x32_bf8_bf8 a[132+0:135+0], v[vgprValuB_X1_I0+8+0+0:vgprValuB_X1_I0+8+0+0+1], v[vgprValuA_X1_I0+2+0+0:vgprValuA_X1_I0+2+0+0+1], a[132:135]
/*  mfmaIndex:90  */
_buffer_load_b32 v[vgprG2LA+15], v[vgprGlobalReadOffsetA+15], s[sgprSrdA:sgprSrdA+3], 0, offen offset:0 // G -> Reg 0_0_15_0
v_mfma_f32_16x16x32_bf8_bf8 a[136+0:139+0], v[vgprValuB_X1_I0+8+0+0:vgprValuB_X1_I0+8+0+0+1], v[vgprValuA_X1_I0+4+0+0:vgprValuA_X1_I0+4+0+0+1], a[136:139]
/*  mfmaIndex:91  */
/* sched write - iter 1 writesPerItem=1 */
s_waitcnt vmcnt(0)                                 // lgkmcnt=-1 vmcnt=0wait for global read before writing to local
_ds_store_b32 v[vgprLocalWriteAddrA], v[vgprG2LA+16] offset:16512 // lwoA_0_0_16_0 = (0*LSCA)*(MT0I+PAD) + (16*LSPA) = 16512
v_mfma_f32_16x16x32_bf8_bf8 a[140+0:143+0], v[vgprValuB_X1_I0+8+0+0:vgprValuB_X1_I0+8+0+0+1], v[vgprValuA_X1_I0+6+0+0:vgprValuA_X1_I0+6+0+0+1], a[140:143]
/*  mfmaIndex:92  */
_buffer_load_b32 v[vgprG2LA+16], v[vgprGlobalReadOffsetA+16], s[sgprSrdA:sgprSrdA+3], 0, offen offset:0 // G -> Reg 0_0_16_0
v_mfma_f32_16x16x32_bf8_bf8 a[144+0:147+0], v[vgprValuB_X1_I0+8+0+0:vgprValuB_X1_I0+8+0+0+1], v[vgprValuA_X1_I0+8+0+0:vgprValuA_X1_I0+8+0+0+1], a[144:147]
/*  mfmaIndex:93  */
/* sched write - iter 1 writesPerItem=1 */
s_waitcnt vmcnt(0)                                 // lgkmcnt=-1 vmcnt=0wait for global read before writing to local
_ds_store_b32 v[vgprLocalWriteAddrA], v[vgprG2LA+17] offset:17544 // lwoA_0_0_17_0 = (0*LSCA)*(MT0I+PAD) + (17*LSPA) = 17544
v_mfma_f32_16x16x32_bf8_bf8 a[148+0:151+0], v[vgprValuB_X1_I0+8+0+0:vgprValuB_X1_I0+8+0+0+1], v[vgprValuA_X1_I0+10+0+0:vgprValuA_X1_I0+10+0+0+1], a[148:151]
/*  mfmaIndex:94  */
_buffer_load_b32 v[vgprG2LA+17], v[vgprGlobalReadOffsetA+17], s[sgprSrdA:sgprSrdA+3], 0, offen offset:0 // G -> Reg 0_0_17_0
v_mfma_f32_16x16x32_bf8_bf8 a[152+0:155+0], v[vgprValuB_X1_I0+8+0+0:vgprValuB_X1_I0+8+0+0+1], v[vgprValuA_X1_I0+12+0+0:vgprValuA_X1_I0+12+0+0+1], a[152:155]
/*  mfmaIndex:95  */
v_mfma_f32_16x16x32_bf8_bf8 a[156+0:159+0], v[vgprValuB_X1_I0+8+0+0:vgprValuB_X1_I0+8+0+0+1], v[vgprValuA_X1_I0+14+0+0:vgprValuA_X1_I0+14+0+0+1], a[156:159]
/*  mfmaIndex:96  */
/* sched write - iter 1 writesPerItem=1 */
s_waitcnt vmcnt(0)                                 // lgkmcnt=-1 vmcnt=0wait for global read before writing to local
_ds_store_b32 v[vgprLocalWriteAddrA], v[vgprG2LA+18] offset:18576 // lwoA_0_0_18_0 = (0*LSCA)*(MT0I+PAD) + (18*LSPA) = 18576
v_mfma_f32_16x16x32_bf8_bf8 a[188+0:191+0], v[vgprValuB_X1_I0+10+0+0:vgprValuB_X1_I0+10+0+0+1], v[vgprValuA_X1_I0+14+0+0:vgprValuA_X1_I0+14+0+0+1], a[188:191]
/*  mfmaIndex:97  */
_buffer_load_b32 v[vgprG2LA+18], v[vgprGlobalReadOffsetA+18], s[sgprSrdA:sgprSrdA+3], 0, offen offset:0 // G -> Reg 0_0_18_0
v_mfma_f32_16x16x32_bf8_bf8 a[184+0:187+0], v[vgprValuB_X1_I0+10+0+0:vgprValuB_X1_I0+10+0+0+1], v[vgprValuA_X1_I0+12+0+0:vgprValuA_X1_I0+12+0+0+1], a[184:187]
/*  mfmaIndex:98  */
/* sched write - iter 1 writesPerItem=1 */
s_waitcnt vmcnt(0)                                 // lgkmcnt=-1 vmcnt=0wait for global read before writing to local
_ds_store_b32 v[vgprLocalWriteAddrA], v[vgprG2LA+19] offset:19608 // lwoA_0_0_19_0 = (0*LSCA)*(MT0I+PAD) + (19*LSPA) = 19608
v_mfma_f32_16x16x32_bf8_bf8 a[180+0:183+0], v[vgprValuB_X1_I0+10+0+0:vgprValuB_X1_I0+10+0+0+1], v[vgprValuA_X1_I0+10+0+0:vgprValuA_X1_I0+10+0+0+1], a[180:183]
/*  mfmaIndex:99  */
_buffer_load_b32 v[vgprG2LA+19], v[vgprGlobalReadOffsetA+19], s[sgprSrdA:sgprSrdA+3], 0, offen offset:0 // G -> Reg 0_0_19_0
v_mfma_f32_16x16x32_bf8_bf8 a[176+0:179+0], v[vgprValuB_X1_I0+10+0+0:vgprValuB_X1_I0+10+0+0+1], v[vgprValuA_X1_I0+8+0+0:vgprValuA_X1_I0+8+0+0+1], a[176:179]
/*  mfmaIndex:100  */
v_mfma_f32_16x16x32_bf8_bf8 a[172+0:175+0], v[vgprValuB_X1_I0+10+0+0:vgprValuB_X1_I0+10+0+0+1], v[vgprValuA_X1_I0+6+0+0:vgprValuA_X1_I0+6+0+0+1], a[172:175]
/*  mfmaIndex:101  */
/* sched write - iter 1 writesPerItem=1 */
s_waitcnt vmcnt(0)                                 // lgkmcnt=-1 vmcnt=0wait for global read before writing to local
_ds_store_b32 v[vgprLocalWriteAddrA], v[vgprG2LA+20] offset:20640 // lwoA_0_0_20_0 = (0*LSCA)*(MT0I+PAD) + (20*LSPA) = 20640
v_mfma_f32_16x16x32_bf8_bf8 a[168+0:171+0], v[vgprValuB_X1_I0+10+0+0:vgprValuB_X1_I0+10+0+0+1], v[vgprValuA_X1_I0+4+0+0:vgprValuA_X1_I0+4+0+0+1], a[168:171]
/*  mfmaIndex:102  */
_buffer_load_b32 v[vgprG2LA+20], v[vgprGlobalReadOffsetA+20], s[sgprSrdA:sgprSrdA+3], 0, offen offset:0 // G -> Reg 0_0_20_0
v_mfma_f32_16x16x32_bf8_bf8 a[164+0:167+0], v[vgprValuB_X1_I0+10+0+0:vgprValuB_X1_I0+10+0+0+1], v[vgprValuA_X1_I0+2+0+0:vgprValuA_X1_I0+2+0+0+1], a[164:167]
/*  mfmaIndex:103  */
/* sched write - iter 1 writesPerItem=1 */
s_waitcnt vmcnt(0)                                 // lgkmcnt=-1 vmcnt=0wait for global read before writing to local
_ds_store_b32 v[vgprLocalWriteAddrA], v[vgprG2LA+21] offset:21672 // lwoA_0_0_21_0 = (0*LSCA)*(MT0I+PAD) + (21*LSPA) = 21672
v_mfma_f32_16x16x32_bf8_bf8 a[160+0:163+0], v[vgprValuB_X1_I0+10+0+0:vgprValuB_X1_I0+10+0+0+1], v[vgprValuA_X1_I0+0+0+0:vgprValuA_X1_I0+0+0+0+1], a[160:163]
/*  mfmaIndex:104  */
_buffer_load_b32 v[vgprG2LA+21], v[vgprGlobalReadOffsetA+21], s[sgprSrdA:sgprSrdA+3], 0, offen offset:0 // G -> Reg 0_0_21_0
v_mfma_f32_16x16x32_bf8_bf8 a[192+0:195+0], v[vgprValuB_X1_I0+12+0+0:vgprValuB_X1_I0+12+0+0+1], v[vgprValuA_X1_I0+0+0+0:vgprValuA_X1_I0+0+0+0+1], a[192:195]
/*  mfmaIndex:105  */
v_mfma_f32_16x16x32_bf8_bf8 a[196+0:199+0], v[vgprValuB_X1_I0+12+0+0:vgprValuB_X1_I0+12+0+0+1], v[vgprValuA_X1_I0+2+0+0:vgprValuA_X1_I0+2+0+0+1], a[196:199]
/*  mfmaIndex:106  */
/* sched write - iter 1 writesPerItem=1 */
s_waitcnt vmcnt(0)                                 // lgkmcnt=-1 vmcnt=0wait for global read before writing to local
_ds_store_b32 v[vgprLocalWriteAddrA], v[vgprG2LA+22] offset:22704 // lwoA_0_0_22_0 = (0*LSCA)*(MT0I+PAD) + (22*LSPA) = 22704
v_mfma_f32_16x16x32_bf8_bf8 a[200+0:203+0], v[vgprValuB_X1_I0+12+0+0:vgprValuB_X1_I0+12+0+0+1], v[vgprValuA_X1_I0+4+0+0:vgprValuA_X1_I0+4+0+0+1], a[200:203]
/*  mfmaIndex:107  */
_buffer_load_b32 v[vgprG2LA+22], v[vgprGlobalReadOffsetA+22], s[sgprSrdA:sgprSrdA+3], 0, offen offset:0 // G -> Reg 0_0_22_0
v_mfma_f32_16x16x32_bf8_bf8 a[204+0:207+0], v[vgprValuB_X1_I0+12+0+0:vgprValuB_X1_I0+12+0+0+1], v[vgprValuA_X1_I0+6+0+0:vgprValuA_X1_I0+6+0+0+1], a[204:207]
/*  mfmaIndex:108  */
/* sched write - iter 1 writesPerItem=1 */
s_waitcnt vmcnt(0)                                 // lgkmcnt=-1 vmcnt=0wait for global read before writing to local
_ds_store_b32 v[vgprLocalWriteAddrA], v[vgprG2LA+23] offset:23736 // lwoA_0_0_23_0 = (0*LSCA)*(MT0I+PAD) + (23*LSPA) = 23736
v_mfma_f32_16x16x32_bf8_bf8 a[208+0:211+0], v[vgprValuB_X1_I0+12+0+0:vgprValuB_X1_I0+12+0+0+1], v[vgprValuA_X1_I0+8+0+0:vgprValuA_X1_I0+8+0+0+1], a[208:211]
/*  mfmaIndex:109  */
_buffer_load_b32 v[vgprG2LA+23], v[vgprGlobalReadOffsetA+23], s[sgprSrdA:sgprSrdA+3], 0, offen offset:0 // G -> Reg 0_0_23_0
v_mfma_f32_16x16x32_bf8_bf8 a[212+0:215+0], v[vgprValuB_X1_I0+12+0+0:vgprValuB_X1_I0+12+0+0+1], v[vgprValuA_X1_I0+10+0+0:vgprValuA_X1_I0+10+0+0+1], a[212:215]
/*  mfmaIndex:110  */
v_mfma_f32_16x16x32_bf8_bf8 a[216+0:219+0], v[vgprValuB_X1_I0+12+0+0:vgprValuB_X1_I0+12+0+0+1], v[vgprValuA_X1_I0+12+0+0:vgprValuA_X1_I0+12+0+0+1], a[216:219]
/*  mfmaIndex:111  */
/* sched write - iter 1 writesPerItem=1 */
s_waitcnt vmcnt(0)                                 // lgkmcnt=-1 vmcnt=0wait for global read before writing to local
_ds_store_b32 v[vgprLocalWriteAddrA], v[vgprG2LA+24] offset:24768 // lwoA_0_0_24_0 = (0*LSCA)*(MT0I+PAD) + (24*LSPA) = 24768
v_mfma_f32_16x16x32_bf8_bf8 a[220+0:223+0], v[vgprValuB_X1_I0+12+0+0:vgprValuB_X1_I0+12+0+0+1], v[vgprValuA_X1_I0+14+0+0:vgprValuA_X1_I0+14+0+0+1], a[220:223]


/* iter 2 (reset local read pointers iteration)  (swap local read pointers iteration)  */

/*  grEndMfmaIndex:18, lwStartMfmaIndex:52, lwEndMfmaIndex:198  */
/*  numMfmaForLR:20, barrierMfmaIndex:203, LocalWritePerMfma:0.405 */
/*  mfmaIndex:112  */
_buffer_load_b32 v[vgprG2LA+24], v[vgprGlobalReadOffsetA+24], s[sgprSrdA:sgprSrdA+3], 0, offen offset:0 // G -> Reg 0_0_24_0
v_mfma_f32_16x16x32_bf8_bf8 a[0+0:3+0], v[vgprValuB_X2_I0+0+0+0:vgprValuB_X2_I0+0+0+0+1], v[vgprValuA_X2_I0+0+0+0:vgprValuA_X2_I0+0+0+0+1], a[0:3]
/*  mfmaIndex:113  */
/* sched write - iter 2 writesPerItem=1 */
s_waitcnt vmcnt(0)                                 // lgkmcnt=-1 vmcnt=0wait for global read before writing to local
_ds_store_b32 v[vgprLocalWriteAddrA], v[vgprG2LA+25] offset:25800 // lwoA_0_0_25_0 = (0*LSCA)*(MT0I+PAD) + (25*LSPA) = 25800
v_mfma_f32_16x16x32_bf8_bf8 a[4+0:7+0], v[vgprValuB_X2_I0+0+0+0:vgprValuB_X2_I0+0+0+0+1], v[vgprValuA_X2_I0+2+0+0:vgprValuA_X2_I0+2+0+0+1], a[4:7]
/*  mfmaIndex:114  */
_buffer_load_b32 v[vgprG2LA+25], v[vgprGlobalReadOffsetA+25], s[sgprSrdA:sgprSrdA+3], 0, offen offset:0 // G -> Reg 0_0_25_0
v_mfma_f32_16x16x32_bf8_bf8 a[8+0:11+0], v[vgprValuB_X2_I0+0+0+0:vgprValuB_X2_I0+0+0+0+1], v[vgprValuA_X2_I0+4+0+0:vgprValuA_X2_I0+4+0+0+1], a[8:11]
/*  mfmaIndex:115  */
v_mfma_f32_16x16x32_bf8_bf8 a[12+0:15+0], v[vgprValuB_X2_I0+0+0+0:vgprValuB_X2_I0+0+0+0+1], v[vgprValuA_X2_I0+6+0+0:vgprValuA_X2_I0+6+0+0+1], a[12:15]
/*  mfmaIndex:116  */
/* sched write - iter 2 writesPerItem=1 */
s_waitcnt vmcnt(0)                                 // lgkmcnt=-1 vmcnt=0wait for global read before writing to local
_ds_store_b32 v[vgprLocalWriteAddrA], v[vgprG2LA+26] offset:26832 // lwoA_0_0_26_0 = (0*LSCA)*(MT0I+PAD) + (26*LSPA) = 26832
v_mfma_f32_16x16x32_bf8_bf8 a[16+0:19+0], v[vgprValuB_X2_I0+0+0+0:vgprValuB_X2_I0+0+0+0+1], v[vgprValuA_X2_I0+8+0+0:vgprValuA_X2_I0+8+0+0+1], a[16:19]
/*  mfmaIndex:117  */
_buffer_load_b32 v[vgprG2LA+26], v[vgprGlobalReadOffsetA+26], s[sgprSrdA:sgprSrdA+3], 0, offen offset:0 // G -> Reg 0_0_26_0
v_mfma_f32_16x16x32_bf8_bf8 a[20+0:23+0], v[vgprValuB_X2_I0+0+0+0:vgprValuB_X2_I0+0+0+0+1], v[vgprValuA_X2_I0+10+0+0:vgprValuA_X2_I0+10+0+0+1], a[20:23]
/*  mfmaIndex:118  */
/* sched write - iter 2 writesPerItem=1 */
s_waitcnt vmcnt(0)                                 // lgkmcnt=-1 vmcnt=0wait for global read before writing to local
_ds_store_b32 v[vgprLocalWriteAddrA], v[vgprG2LA+27] offset:27864 // lwoA_0_0_27_0 = (0*LSCA)*(MT0I+PAD) + (27*LSPA) = 27864
v_mfma_f32_16x16x32_bf8_bf8 a[24+0:27+0], v[vgprValuB_X2_I0+0+0+0:vgprValuB_X2_I0+0+0+0+1], v[vgprValuA_X2_I0+12+0+0:vgprValuA_X2_I0+12+0+0+1], a[24:27]
/*  mfmaIndex:119  */
_buffer_load_b32 v[vgprG2LA+27], v[vgprGlobalReadOffsetA+27], s[sgprSrdA:sgprSrdA+3], 0, offen offset:0 // G -> Reg 0_0_27_0
v_mfma_f32_16x16x32_bf8_bf8 a[28+0:31+0], v[vgprValuB_X2_I0+0+0+0:vgprValuB_X2_I0+0+0+0+1], v[vgprValuA_X2_I0+14+0+0:vgprValuA_X2_I0+14+0+0+1], a[28:31]
/*  mfmaIndex:120  */
v_mfma_f32_16x16x32_bf8_bf8 a[60+0:63+0], v[vgprValuB_X2_I0+2+0+0:vgprValuB_X2_I0+2+0+0+1], v[vgprValuA_X2_I0+14+0+0:vgprValuA_X2_I0+14+0+0+1], a[60:63]
/*  mfmaIndex:121  */
/* sched write - iter 2 writesPerItem=1 */
s_waitcnt vmcnt(0)                                 // lgkmcnt=-1 vmcnt=0wait for global read before writing to local
_ds_store_b32 v[vgprLocalWriteAddrA], v[vgprG2LA+28] offset:28896 // lwoA_0_0_28_0 = (0*LSCA)*(MT0I+PAD) + (28*LSPA) = 28896
v_mfma_f32_16x16x32_bf8_bf8 a[56+0:59+0], v[vgprValuB_X2_I0+2+0+0:vgprValuB_X2_I0+2+0+0+1], v[vgprValuA_X2_I0+12+0+0:vgprValuA_X2_I0+12+0+0+1], a[56:59]
/*  mfmaIndex:122  */
_buffer_load_b32 v[vgprG2LA+28], v[vgprGlobalReadOffsetA+28], s[sgprSrdA:sgprSrdA+3], 0, offen offset:0 // G -> Reg 0_0_28_0
v_mfma_f32_16x16x32_bf8_bf8 a[52+0:55+0], v[vgprValuB_X2_I0+2+0+0:vgprValuB_X2_I0+2+0+0+1], v[vgprValuA_X2_I0+10+0+0:vgprValuA_X2_I0+10+0+0+1], a[52:55]
/*  mfmaIndex:123  */
/* sched write - iter 2 writesPerItem=1 */
s_waitcnt vmcnt(0)                                 // lgkmcnt=-1 vmcnt=0wait for global read before writing to local
_ds_store_b32 v[vgprLocalWriteAddrA], v[vgprG2LA+29] offset:29928 // lwoA_0_0_29_0 = (0*LSCA)*(MT0I+PAD) + (29*LSPA) = 29928
v_mfma_f32_16x16x32_bf8_bf8 a[48+0:51+0], v[vgprValuB_X2_I0+2+0+0:vgprValuB_X2_I0+2+0+0+1], v[vgprValuA_X2_I0+8+0+0:vgprValuA_X2_I0+8+0+0+1], a[48:51]
/*  mfmaIndex:124  */
_buffer_load_b32 v[vgprG2LA+29], v[vgprGlobalReadOffsetA+29], s[sgprSrdA:sgprSrdA+3], 0, offen offset:0 // G -> Reg 0_0_29_0
v_mfma_f32_16x16x32_bf8_bf8 a[44+0:47+0], v[vgprValuB_X2_I0+2+0+0:vgprValuB_X2_I0+2+0+0+1], v[vgprValuA_X2_I0+6+0+0:vgprValuA_X2_I0+6+0+0+1], a[44:47]
/*  mfmaIndex:125  */
v_mfma_f32_16x16x32_bf8_bf8 a[40+0:43+0], v[vgprValuB_X2_I0+2+0+0:vgprValuB_X2_I0+2+0+0+1], v[vgprValuA_X2_I0+4+0+0:vgprValuA_X2_I0+4+0+0+1], a[40:43]
/*  mfmaIndex:126  */
/* sched write - iter 2 writesPerItem=1 */
s_waitcnt vmcnt(0)                                 // lgkmcnt=-1 vmcnt=0wait for global read before writing to local
_ds_store_b32 v[vgprLocalWriteAddrA], v[vgprG2LA+30] offset:30960 // lwoA_0_0_30_0 = (0*LSCA)*(MT0I+PAD) + (30*LSPA) = 30960
v_mfma_f32_16x16x32_bf8_bf8 a[36+0:39+0], v[vgprValuB_X2_I0+2+0+0:vgprValuB_X2_I0+2+0+0+1], v[vgprValuA_X2_I0+2+0+0:vgprValuA_X2_I0+2+0+0+1], a[36:39]
/*  mfmaIndex:127  */
_buffer_load_b32 v[vgprG2LA+30], v[vgprGlobalReadOffsetA+30], s[sgprSrdA:sgprSrdA+3], 0, offen offset:0 // G -> Reg 0_0_30_0
v_mfma_f32_16x16x32_bf8_bf8 a[32+0:35+0], v[vgprValuB_X2_I0+2+0+0:vgprValuB_X2_I0+2+0+0+1], v[vgprValuA_X2_I0+0+0+0:vgprValuA_X2_I0+0+0+0+1], a[32:35]
/*  mfmaIndex:128  */
/* sched write - iter 2 writesPerItem=1 */
s_waitcnt vmcnt(0)                                 // lgkmcnt=-1 vmcnt=0wait for global read before writing to local
_ds_store_b32 v[vgprLocalWriteAddrA], v[vgprG2LA+31] offset:31992 // lwoA_0_0_31_0 = (0*LSCA)*(MT0I+PAD) + (31*LSPA) = 31992
v_mfma_f32_16x16x32_bf8_bf8 a[64+0:67+0], v[vgprValuB_X2_I0+4+0+0:vgprValuB_X2_I0+4+0+0+1], v[vgprValuA_X2_I0+0+0+0:vgprValuA_X2_I0+0+0+0+1], a[64:67]
/*  mfmaIndex:129  */
_buffer_load_b32 v[vgprG2LA+31], v[vgprGlobalReadOffsetA+31], s[sgprSrdA:sgprSrdA+3], 0, offen offset:0 // G -> Reg 0_0_31_0
v_mfma_f32_16x16x32_bf8_bf8 a[68+0:71+0], v[vgprValuB_X2_I0+4+0+0:vgprValuB_X2_I0+4+0+0+1], v[vgprValuA_X2_I0+2+0+0:vgprValuA_X2_I0+2+0+0+1], a[68:71]
/*  mfmaIndex:130  */
v_mfma_f32_16x16x32_bf8_bf8 a[72+0:75+0], v[vgprValuB_X2_I0+4+0+0:vgprValuB_X2_I0+4+0+0+1], v[vgprValuA_X2_I0+4+0+0:vgprValuA_X2_I0+4+0+0+1], a[72:75]
/*  mfmaIndex:131  */
/* sched write - iter 2 writesPerItem=1 */
s_waitcnt vmcnt(0)                                 // lgkmcnt=-1 vmcnt=0wait for global read before writing to local
_ds_store_b32 v[vgprLocalWriteAddrB], v[vgprG2LB+0] offset:0 // lwoB_0_0_0_0 = (0*LSCB)*(MT1J+PAD) + (0*LSPB) = 0
v_mfma_f32_16x16x32_bf8_bf8 a[76+0:79+0], v[vgprValuB_X2_I0+4+0+0:vgprValuB_X2_I0+4+0+0+1], v[vgprValuA_X2_I0+6+0+0:vgprValuA_X2_I0+6+0+0+1], a[76:79]
/*  mfmaIndex:132  */
_buffer_load_b32 v[vgprG2LB+0], v[vgprGlobalReadOffsetB+0], s[sgprSrdB:sgprSrdB+3], 0, offen offset:0 // G -> Reg 0_0_0_0
v_mfma_f32_16x16x32_bf8_bf8 a[80+0:83+0], v[vgprValuB_X2_I0+4+0+0:vgprValuB_X2_I0+4+0+0+1], v[vgprValuA_X2_I0+8+0+0:vgprValuA_X2_I0+8+0+0+1], a[80:83]
/*  mfmaIndex:133  */
/* sched write - iter 2 writesPerItem=1 */
s_waitcnt vmcnt(0)                                 // lgkmcnt=-1 vmcnt=0wait for global read before writing to local
_ds_store_b32 v[vgprLocalWriteAddrB], v[vgprG2LB+1] offset:1088 // lwoB_0_0_1_0 = (0*LSCB)*(MT1J+PAD) + (1*LSPB) = 1088
v_mfma_f32_16x16x32_bf8_bf8 a[84+0:87+0], v[vgprValuB_X2_I0+4+0+0:vgprValuB_X2_I0+4+0+0+1], v[vgprValuA_X2_I0+10+0+0:vgprValuA_X2_I0+10+0+0+1], a[84:87]
/*  mfmaIndex:134  */
_buffer_load_b32 v[vgprG2LB+1], v[vgprGlobalReadOffsetB+1], s[sgprSrdB:sgprSrdB+3], 0, offen offset:0 // G -> Reg 0_0_1_0
v_mfma_f32_16x16x32_bf8_bf8 a[88+0:91+0], v[vgprValuB_X2_I0+4+0+0:vgprValuB_X2_I0+4+0+0+1], v[vgprValuA_X2_I0+12+0+0:vgprValuA_X2_I0+12+0+0+1], a[88:91]
/*  mfmaIndex:135  */
/* sched write - iter 2 writesPerItem=1 */
s_waitcnt vmcnt(0)                                 // lgkmcnt=-1 vmcnt=0wait for global read before writing to local
_ds_store_b32 v[vgprLocalWriteAddrB], v[vgprG2LB+2] offset:2176 // lwoB_0_0_2_0 = (0*LSCB)*(MT1J+PAD) + (2*LSPB) = 2176
v_mfma_f32_16x16x32_bf8_bf8 a[92+0:95+0], v[vgprValuB_X2_I0+4+0+0:vgprValuB_X2_I0+4+0+0+1], v[vgprValuA_X2_I0+14+0+0:vgprValuA_X2_I0+14+0+0+1], a[92:95]
/*  mfmaIndex:136  */
_buffer_load_b32 v[vgprG2LB+2], v[vgprGlobalReadOffsetB+2], s[sgprSrdB:sgprSrdB+3], 0, offen offset:0 // G -> Reg 0_0_2_0
v_mfma_f32_16x16x32_bf8_bf8 a[124+0:127+0], v[vgprValuB_X2_I0+6+0+0:vgprValuB_X2_I0+6+0+0+1], v[vgprValuA_X2_I0+14+0+0:vgprValuA_X2_I0+14+0+0+1], a[124:127]
/*  mfmaIndex:137  */
v_mfma_f32_16x16x32_bf8_bf8 a[120+0:123+0], v[vgprValuB_X2_I0+6+0+0:vgprValuB_X2_I0+6+0+0+1], v[vgprValuA_X2_I0+12+0+0:vgprValuA_X2_I0+12+0+0+1], a[120:123]
/*  mfmaIndex:138  */
/* sched write - iter 2 writesPerItem=1 */
s_waitcnt vmcnt(0)                                 // lgkmcnt=-1 vmcnt=0wait for global read before writing to local
_ds_store_b32 v[vgprLocalWriteAddrB], v[vgprG2LB+3] offset:3264 // lwoB_0_0_3_0 = (0*LSCB)*(MT1J+PAD) + (3*LSPB) = 3264
v_mfma_f32_16x16x32_bf8_bf8 a[116+0:119+0], v[vgprValuB_X2_I0+6+0+0:vgprValuB_X2_I0+6+0+0+1], v[vgprValuA_X2_I0+10+0+0:vgprValuA_X2_I0+10+0+0+1], a[116:119]
/*  mfmaIndex:139  */
_buffer_load_b32 v[vgprG2LB+3], v[vgprGlobalReadOffsetB+3], s[sgprSrdB:sgprSrdB+3], 0, offen offset:0 // G -> Reg 0_0_3_0
v_mfma_f32_16x16x32_bf8_bf8 a[112+0:115+0], v[vgprValuB_X2_I0+6+0+0:vgprValuB_X2_I0+6+0+0+1], v[vgprValuA_X2_I0+8+0+0:vgprValuA_X2_I0+8+0+0+1], a[112:115]
/*  mfmaIndex:140  */
/* sched write - iter 2 writesPerItem=1 */
s_waitcnt vmcnt(0)                                 // lgkmcnt=-1 vmcnt=0wait for global read before writing to local
_ds_store_b32 v[vgprLocalWriteAddrB], v[vgprG2LB+4] offset:4352 // lwoB_0_0_4_0 = (0*LSCB)*(MT1J+PAD) + (4*LSPB) = 4352
v_mfma_f32_16x16x32_bf8_bf8 a[108+0:111+0], v[vgprValuB_X2_I0+6+0+0:vgprValuB_X2_I0+6+0+0+1], v[vgprValuA_X2_I0+6+0+0:vgprValuA_X2_I0+6+0+0+1], a[108:111]
/*  mfmaIndex:141  */
_buffer_load_b32 v[vgprG2LB+4], v[vgprGlobalReadOffsetB+4], s[sgprSrdB:sgprSrdB+3], 0, offen offset:0 // G -> Reg 0_0_4_0
v_mfma_f32_16x16x32_bf8_bf8 a[104+0:107+0], v[vgprValuB_X2_I0+6+0+0:vgprValuB_X2_I0+6+0+0+1], v[vgprValuA_X2_I0+4+0+0:vgprValuA_X2_I0+4+0+0+1], a[104:107]
/*  mfmaIndex:142  */
v_mfma_f32_16x16x32_bf8_bf8 a[100+0:103+0], v[vgprValuB_X2_I0+6+0+0:vgprValuB_X2_I0+6+0+0+1], v[vgprValuA_X2_I0+2+0+0:vgprValuA_X2_I0+2+0+0+1], a[100:103]
/*  mfmaIndex:143  */
/* sched write - iter 2 writesPerItem=1 */
s_waitcnt vmcnt(0)                                 // lgkmcnt=-1 vmcnt=0wait for global read before writing to local
_ds_store_b32 v[vgprLocalWriteAddrB], v[vgprG2LB+5] offset:5440 // lwoB_0_0_5_0 = (0*LSCB)*(MT1J+PAD) + (5*LSPB) = 5440
v_mfma_f32_16x16x32_bf8_bf8 a[96+0:99+0], v[vgprValuB_X2_I0+6+0+0:vgprValuB_X2_I0+6+0+0+1], v[vgprValuA_X2_I0+0+0+0:vgprValuA_X2_I0+0+0+0+1], a[96:99]
/*  mfmaIndex:144  */
_buffer_load_b32 v[vgprG2LB+5], v[vgprGlobalReadOffsetB+5], s[sgprSrdB:sgprSrdB+3], 0, offen offset:0 // G -> Reg 0_0_5_0
v_mfma_f32_16x16x32_bf8_bf8 a[128+0:131+0], v[vgprValuB_X2_I0+8+0+0:vgprValuB_X2_I0+8+0+0+1], v[vgprValuA_X2_I0+0+0+0:vgprValuA_X2_I0+0+0+0+1], a[128:131]
/*  mfmaIndex:145  */
/* sched write - iter 2 writesPerItem=1 */
s_waitcnt vmcnt(0)                                 // lgkmcnt=-1 vmcnt=0wait for global read before writing to local
_ds_store_b32 v[vgprLocalWriteAddrB], v[vgprG2LB+6] offset:6528 // lwoB_0_0_6_0 = (0*LSCB)*(MT1J+PAD) + (6*LSPB) = 6528
v_mfma_f32_16x16x32_bf8_bf8 a[132+0:135+0], v[vgprValuB_X2_I0+8+0+0:vgprValuB_X2_I0+8+0+0+1], v[vgprValuA_X2_I0+2+0+0:vgprValuA_X2_I0+2+0+0+1], a[132:135]
/*  mfmaIndex:146  */
_buffer_load_b32 v[vgprG2LB+6], v[vgprGlobalReadOffsetB+6], s[sgprSrdB:sgprSrdB+3], 0, offen offset:0 // G -> Reg 0_0_6_0
v_mfma_f32_16x16x32_bf8_bf8 a[136+0:139+0], v[vgprValuB_X2_I0+8+0+0:vgprValuB_X2_I0+8+0+0+1], v[vgprValuA_X2_I0+4+0+0:vgprValuA_X2_I0+4+0+0+1], a[136:139]
/*  mfmaIndex:147  */
v_mfma_f32_16x16x32_bf8_bf8 a[140+0:143+0], v[vgprValuB_X2_I0+8+0+0:vgprValuB_X2_I0+8+0+0+1], v[vgprValuA_X2_I0+6+0+0:vgprValuA_X2_I0+6+0+0+1], a[140:143]
/*  mfmaIndex:148  */
/* sched write - iter 2 writesPerItem=1 */
s_waitcnt vmcnt(0)                                 // lgkmcnt=-1 vmcnt=0wait for global read before writing to local
_ds_store_b32 v[vgprLocalWriteAddrB], v[vgprG2LB+7] offset:7616 // lwoB_0_0_7_0 = (0*LSCB)*(MT1J+PAD) + (7*LSPB) = 7616
v_mfma_f32_16x16x32_bf8_bf8 a[144+0:147+0], v[vgprValuB_X2_I0+8+0+0:vgprValuB_X2_I0+8+0+0+1], v[vgprValuA_X2_I0+8+0+0:vgprValuA_X2_I0+8+0+0+1], a[144:147]
/*  mfmaIndex:149  */
_buffer_load_b32 v[vgprG2LB+7], v[vgprGlobalReadOffsetB+7], s[sgprSrdB:sgprSrdB+3], 0, offen offset:0 // G -> Reg 0_0_7_0
v_mfma_f32_16x16x32_bf8_bf8 a[148+0:151+0], v[vgprValuB_X2_I0+8+0+0:vgprValuB_X2_I0+8+0+0+1], v[vgprValuA_X2_I0+10+0+0:vgprValuA_X2_I0+10+0+0+1], a[148:151]
/*  mfmaIndex:150  */
/* sched write - iter 2 writesPerItem=1 */
s_waitcnt vmcnt(0)                                 // lgkmcnt=-1 vmcnt=0wait for global read before writing to local
_ds_store_b32 v[vgprLocalWriteAddrB], v[vgprG2LB+8] offset:8704 // lwoB_0_0_8_0 = (0*LSCB)*(MT1J+PAD) + (8*LSPB) = 8704
v_mfma_f32_16x16x32_bf8_bf8 a[152+0:155+0], v[vgprValuB_X2_I0+8+0+0:vgprValuB_X2_I0+8+0+0+1], v[vgprValuA_X2_I0+12+0+0:vgprValuA_X2_I0+12+0+0+1], a[152:155]
/*  mfmaIndex:151  */
_buffer_load_b32 v[vgprG2LB+8], v[vgprGlobalReadOffsetB+8], s[sgprSrdB:sgprSrdB+3], 0, offen offset:0 // G -> Reg 0_0_8_0
v_mfma_f32_16x16x32_bf8_bf8 a[156+0:159+0], v[vgprValuB_X2_I0+8+0+0:vgprValuB_X2_I0+8+0+0+1], v[vgprValuA_X2_I0+14+0+0:vgprValuA_X2_I0+14+0+0+1], a[156:159]
/*  mfmaIndex:152  */
v_mfma_f32_16x16x32_bf8_bf8 a[188+0:191+0], v[vgprValuB_X2_I0+10+0+0:vgprValuB_X2_I0+10+0+0+1], v[vgprValuA_X2_I0+14+0+0:vgprValuA_X2_I0+14+0+0+1], a[188:191]
/*  mfmaIndex:153  */
/* sched write - iter 2 writesPerItem=1 */
s_waitcnt vmcnt(0)                                 // lgkmcnt=-1 vmcnt=0wait for global read before writing to local
_ds_store_b32 v[vgprLocalWriteAddrB], v[vgprG2LB+9] offset:9792 // lwoB_0_0_9_0 = (0*LSCB)*(MT1J+PAD) + (9*LSPB) = 9792
v_mfma_f32_16x16x32_bf8_bf8 a[184+0:187+0], v[vgprValuB_X2_I0+10+0+0:vgprValuB_X2_I0+10+0+0+1], v[vgprValuA_X2_I0+12+0+0:vgprValuA_X2_I0+12+0+0+1], a[184:187]
/*  mfmaIndex:154  */
_buffer_load_b32 v[vgprG2LB+9], v[vgprGlobalReadOffsetB+9], s[sgprSrdB:sgprSrdB+3], 0, offen offset:0 // G -> Reg 0_0_9_0
v_mfma_f32_16x16x32_bf8_bf8 a[180+0:183+0], v[vgprValuB_X2_I0+10+0+0:vgprValuB_X2_I0+10+0+0+1], v[vgprValuA_X2_I0+10+0+0:vgprValuA_X2_I0+10+0+0+1], a[180:183]
/*  mfmaIndex:155  */
/* sched write - iter 2 writesPerItem=1 */
s_waitcnt vmcnt(0)                                 // lgkmcnt=-1 vmcnt=0wait for global read before writing to local
_ds_store_b32 v[vgprLocalWriteAddrB], v[vgprG2LB+10] offset:10880 // lwoB_0_0_10_0 = (0*LSCB)*(MT1J+PAD) + (10*LSPB) = 10880
v_mfma_f32_16x16x32_bf8_bf8 a[176+0:179+0], v[vgprValuB_X2_I0+10+0+0:vgprValuB_X2_I0+10+0+0+1], v[vgprValuA_X2_I0+8+0+0:vgprValuA_X2_I0+8+0+0+1], a[176:179]
/*  mfmaIndex:156  */
_buffer_load_b32 v[vgprG2LB+10], v[vgprGlobalReadOffsetB+10], s[sgprSrdB:sgprSrdB+3], 0, offen offset:0 // G -> Reg 0_0_10_0
v_mfma_f32_16x16x32_bf8_bf8 a[172+0:175+0], v[vgprValuB_X2_I0+10+0+0:vgprValuB_X2_I0+10+0+0+1], v[vgprValuA_X2_I0+6+0+0:vgprValuA_X2_I0+6+0+0+1], a[172:175]
/*  mfmaIndex:157  */
v_mfma_f32_16x16x32_bf8_bf8 a[168+0:171+0], v[vgprValuB_X2_I0+10+0+0:vgprValuB_X2_I0+10+0+0+1], v[vgprValuA_X2_I0+4+0+0:vgprValuA_X2_I0+4+0+0+1], a[168:171]
/*  mfmaIndex:158  */
/* sched write - iter 2 writesPerItem=1 */
s_waitcnt vmcnt(0)                                 // lgkmcnt=-1 vmcnt=0wait for global read before writing to local
_ds_store_b32 v[vgprLocalWriteAddrB], v[vgprG2LB+11] offset:11968 // lwoB_0_0_11_0 = (0*LSCB)*(MT1J+PAD) + (11*LSPB) = 11968
v_mfma_f32_16x16x32_bf8_bf8 a[164+0:167+0], v[vgprValuB_X2_I0+10+0+0:vgprValuB_X2_I0+10+0+0+1], v[vgprValuA_X2_I0+2+0+0:vgprValuA_X2_I0+2+0+0+1], a[164:167]
/*  mfmaIndex:159  */
_buffer_load_b32 v[vgprG2LB+11], v[vgprGlobalReadOffsetB+11], s[sgprSrdB:sgprSrdB+3], 0, offen offset:0 // G -> Reg 0_0_11_0
v_mfma_f32_16x16x32_bf8_bf8 a[160+0:163+0], v[vgprValuB_X2_I0+10+0+0:vgprValuB_X2_I0+10+0+0+1], v[vgprValuA_X2_I0+0+0+0:vgprValuA_X2_I0+0+0+0+1], a[160:163]
/*  mfmaIndex:160  */
/* sched write - iter 2 writesPerItem=1 */
s_waitcnt vmcnt(0)                                 // lgkmcnt=-1 vmcnt=0wait for global read before writing to local
_ds_store_b32 v[vgprLocalWriteAddrB], v[vgprG2LB+12] offset:13056 // lwoB_0_0_12_0 = (0*LSCB)*(MT1J+PAD) + (12*LSPB) = 13056
v_mfma_f32_16x16x32_bf8_bf8 a[192+0:195+0], v[vgprValuB_X2_I0+12+0+0:vgprValuB_X2_I0+12+0+0+1], v[vgprValuA_X2_I0+0+0+0:vgprValuA_X2_I0+0+0+0+1], a[192:195]
/*  mfmaIndex:161  */
_buffer_load_b32 v[vgprG2LB+12], v[vgprGlobalReadOffsetB+12], s[sgprSrdB:sgprSrdB+3], 0, offen offset:0 // G -> Reg 0_0_12_0
v_mfma_f32_16x16x32_bf8_bf8 a[196+0:199+0], v[vgprValuB_X2_I0+12+0+0:vgprValuB_X2_I0+12+0+0+1], v[vgprValuA_X2_I0+2+0+0:vgprValuA_X2_I0+2+0+0+1], a[196:199]
/*  mfmaIndex:162  */
v_mfma_f32_16x16x32_bf8_bf8 a[200+0:203+0], v[vgprValuB_X2_I0+12+0+0:vgprValuB_X2_I0+12+0+0+1], v[vgprValuA_X2_I0+4+0+0:vgprValuA_X2_I0+4+0+0+1], a[200:203]
/*  mfmaIndex:163  */
/* sched write - iter 2 writesPerItem=1 */
s_waitcnt vmcnt(0)                                 // lgkmcnt=-1 vmcnt=0wait for global read before writing to local
_ds_store_b32 v[vgprLocalWriteAddrB], v[vgprG2LB+13] offset:14144 // lwoB_0_0_13_0 = (0*LSCB)*(MT1J+PAD) + (13*LSPB) = 14144
v_mfma_f32_16x16x32_bf8_bf8 a[204+0:207+0], v[vgprValuB_X2_I0+12+0+0:vgprValuB_X2_I0+12+0+0+1], v[vgprValuA_X2_I0+6+0+0:vgprValuA_X2_I0+6+0+0+1], a[204:207]
/*  mfmaIndex:164  */
_buffer_load_b32 v[vgprG2LB+13], v[vgprGlobalReadOffsetB+13], s[sgprSrdB:sgprSrdB+3], 0, offen offset:0 // G -> Reg 0_0_13_0
v_mfma_f32_16x16x32_bf8_bf8 a[208+0:211+0], v[vgprValuB_X2_I0+12+0+0:vgprValuB_X2_I0+12+0+0+1], v[vgprValuA_X2_I0+8+0+0:vgprValuA_X2_I0+8+0+0+1], a[208:211]
/*  mfmaIndex:165  */
/* sched write - iter 2 writesPerItem=1 */
s_waitcnt vmcnt(0)                                 // lgkmcnt=-1 vmcnt=0wait for global read before writing to local
_ds_store_b32 v[vgprLocalWriteAddrB], v[vgprG2LB+14] offset:15232 // lwoB_0_0_14_0 = (0*LSCB)*(MT1J+PAD) + (14*LSPB) = 15232
v_mfma_f32_16x16x32_bf8_bf8 a[212+0:215+0], v[vgprValuB_X2_I0+12+0+0:vgprValuB_X2_I0+12+0+0+1], v[vgprValuA_X2_I0+10+0+0:vgprValuA_X2_I0+10+0+0+1], a[212:215]
/*  mfmaIndex:166  */
_buffer_load_b32 v[vgprG2LB+14], v[vgprGlobalReadOffsetB+14], s[sgprSrdB:sgprSrdB+3], 0, offen offset:0 // G -> Reg 0_0_14_0
v_mfma_f32_16x16x32_bf8_bf8 a[216+0:219+0], v[vgprValuB_X2_I0+12+0+0:vgprValuB_X2_I0+12+0+0+1], v[vgprValuA_X2_I0+12+0+0:vgprValuA_X2_I0+12+0+0+1], a[216:219]
/*  mfmaIndex:167  */

/* local read swap offsets a */

/* local read swap offsets b */

/* local read init pointers a */

/* localReadInitPointers */

/* local read init pointers b */

/* localReadInitPointers */
v_mfma_f32_16x16x32_bf8_bf8 a[220+0:223+0], v[vgprValuB_X2_I0+12+0+0:vgprValuB_X2_I0+12+0+0+1], v[vgprValuA_X2_I0+14+0+0:vgprValuA_X2_I0+14+0+0+1], a[220:223]


/* iter 3 (swap and reset local write pointers iteration)  */

/*  grEndMfmaIndex:18, lwStartMfmaIndex:52, lwEndMfmaIndex:198  */
/*  numMfmaForLR:20, barrierMfmaIndex:203, LocalWritePerMfma:0.405 */
/*  mfmaIndex:168  */
/* sched write - iter 3 writesPerItem=1 */
s_waitcnt vmcnt(0)                                 // lgkmcnt=-1 vmcnt=0wait for global read before writing to local
_ds_store_b32 v[vgprLocalWriteAddrB], v[vgprG2LB+15] offset:16320 // lwoB_0_0_15_0 = (0*LSCB)*(MT1J+PAD) + (15*LSPB) = 16320
v_mfma_f32_16x16x32_bf8_bf8 a[0+0:3+0], v[vgprValuB_X3_I0+0+0+0:vgprValuB_X3_I0+0+0+0+1], v[vgprValuA_X3_I0+0+0+0:vgprValuA_X3_I0+0+0+0+1], a[0:3]
/*  mfmaIndex:169  */
_buffer_load_b32 v[vgprG2LB+15], v[vgprGlobalReadOffsetB+15], s[sgprSrdB:sgprSrdB+3], 0, offen offset:0 // G -> Reg 0_0_15_0
v_mfma_f32_16x16x32_bf8_bf8 a[4+0:7+0], v[vgprValuB_X3_I0+0+0+0:vgprValuB_X3_I0+0+0+0+1], v[vgprValuA_X3_I0+2+0+0:vgprValuA_X3_I0+2+0+0+1], a[4:7]
/*  mfmaIndex:170  */
/* sched write - iter 3 writesPerItem=1 */
s_waitcnt vmcnt(0)                                 // lgkmcnt=-1 vmcnt=0wait for global read before writing to local
_ds_store_b32 v[vgprLocalWriteAddrB], v[vgprG2LB+16] offset:17408 // lwoB_0_0_16_0 = (0*LSCB)*(MT1J+PAD) + (16*LSPB) = 17408
v_mfma_f32_16x16x32_bf8_bf8 a[8+0:11+0], v[vgprValuB_X3_I0+0+0+0:vgprValuB_X3_I0+0+0+0+1], v[vgprValuA_X3_I0+4+0+0:vgprValuA_X3_I0+4+0+0+1], a[8:11]
/*  mfmaIndex:171  */
_buffer_load_b32 v[vgprG2LB+16], v[vgprGlobalReadOffsetB+16], s[sgprSrdB:sgprSrdB+3], 0, offen offset:0 // G -> Reg 0_0_16_0
v_mfma_f32_16x16x32_bf8_bf8 a[12+0:15+0], v[vgprValuB_X3_I0+0+0+0:vgprValuB_X3_I0+0+0+0+1], v[vgprValuA_X3_I0+6+0+0:vgprValuA_X3_I0+6+0+0+1], a[12:15]
/*  mfmaIndex:172  */
/* sched write - iter 3 writesPerItem=1 */
s_waitcnt vmcnt(0)                                 // lgkmcnt=-1 vmcnt=0wait for global read before writing to local
_ds_store_b32 v[vgprLocalWriteAddrB], v[vgprG2LB+17] offset:18496 // lwoB_0_0_17_0 = (0*LSCB)*(MT1J+PAD) + (17*LSPB) = 18496
v_mfma_f32_16x16x32_bf8_bf8 a[16+0:19+0], v[vgprValuB_X3_I0+0+0+0:vgprValuB_X3_I0+0+0+0+1], v[vgprValuA_X3_I0+8+0+0:vgprValuA_X3_I0+8+0+0+1], a[16:19]
/*  mfmaIndex:173  */
_buffer_load_b32 v[vgprG2LB+17], v[vgprGlobalReadOffsetB+17], s[sgprSrdB:sgprSrdB+3], 0, offen offset:0 // G -> Reg 0_0_17_0
v_mfma_f32_16x16x32_bf8_bf8 a[20+0:23+0], v[vgprValuB_X3_I0+0+0+0:vgprValuB_X3_I0+0+0+0+1], v[vgprValuA_X3_I0+10+0+0:vgprValuA_X3_I0+10+0+0+1], a[20:23]
/*  mfmaIndex:174  */
v_mfma_f32_16x16x32_bf8_bf8 a[24+0:27+0], v[vgprValuB_X3_I0+0+0+0:vgprValuB_X3_I0+0+0+0+1], v[vgprValuA_X3_I0+12+0+0:vgprValuA_X3_I0+12+0+0+1], a[24:27]
/*  mfmaIndex:175  */
/* sched write - iter 3 writesPerItem=1 */
s_waitcnt vmcnt(0)                                 // lgkmcnt=-1 vmcnt=0wait for global read before writing to local
_ds_store_b32 v[vgprLocalWriteAddrB], v[vgprG2LB+18] offset:19584 // lwoB_0_0_18_0 = (0*LSCB)*(MT1J+PAD) + (18*LSPB) = 19584
v_mfma_f32_16x16x32_bf8_bf8 a[28+0:31+0], v[vgprValuB_X3_I0+0+0+0:vgprValuB_X3_I0+0+0+0+1], v[vgprValuA_X3_I0+14+0+0:vgprValuA_X3_I0+14+0+0+1], a[28:31]
/*  mfmaIndex:176  */
_buffer_load_b32 v[vgprG2LB+18], v[vgprGlobalReadOffsetB+18], s[sgprSrdB:sgprSrdB+3], 0, offen offset:0 // G -> Reg 0_0_18_0
v_mfma_f32_16x16x32_bf8_bf8 a[60+0:63+0], v[vgprValuB_X3_I0+2+0+0:vgprValuB_X3_I0+2+0+0+1], v[vgprValuA_X3_I0+14+0+0:vgprValuA_X3_I0+14+0+0+1], a[60:63]
/*  mfmaIndex:177  */
/* sched write - iter 3 writesPerItem=1 */
s_waitcnt vmcnt(0)                                 // lgkmcnt=-1 vmcnt=0wait for global read before writing to local
_ds_store_b32 v[vgprLocalWriteAddrB], v[vgprG2LB+19] offset:20672 // lwoB_0_0_19_0 = (0*LSCB)*(MT1J+PAD) + (19*LSPB) = 20672
v_mfma_f32_16x16x32_bf8_bf8 a[56+0:59+0], v[vgprValuB_X3_I0+2+0+0:vgprValuB_X3_I0+2+0+0+1], v[vgprValuA_X3_I0+12+0+0:vgprValuA_X3_I0+12+0+0+1], a[56:59]
/*  mfmaIndex:178  */
_buffer_load_b32 v[vgprG2LB+19], v[vgprGlobalReadOffsetB+19], s[sgprSrdB:sgprSrdB+3], 0, offen offset:0 // G -> Reg 0_0_19_0
v_mfma_f32_16x16x32_bf8_bf8 a[52+0:55+0], v[vgprValuB_X3_I0+2+0+0:vgprValuB_X3_I0+2+0+0+1], v[vgprValuA_X3_I0+10+0+0:vgprValuA_X3_I0+10+0+0+1], a[52:55]
/*  mfmaIndex:179  */
v_mfma_f32_16x16x32_bf8_bf8 a[48+0:51+0], v[vgprValuB_X3_I0+2+0+0:vgprValuB_X3_I0+2+0+0+1], v[vgprValuA_X3_I0+8+0+0:vgprValuA_X3_I0+8+0+0+1], a[48:51]
/*  mfmaIndex:180  */
/* sched write - iter 3 writesPerItem=1 */
s_waitcnt vmcnt(0)                                 // lgkmcnt=-1 vmcnt=0wait for global read before writing to local
_ds_store_b32 v[vgprLocalWriteAddrB], v[vgprG2LB+20] offset:21760 // lwoB_0_0_20_0 = (0*LSCB)*(MT1J+PAD) + (20*LSPB) = 21760
v_mfma_f32_16x16x32_bf8_bf8 a[44+0:47+0], v[vgprValuB_X3_I0+2+0+0:vgprValuB_X3_I0+2+0+0+1], v[vgprValuA_X3_I0+6+0+0:vgprValuA_X3_I0+6+0+0+1], a[44:47]
/*  mfmaIndex:181  */
_buffer_load_b32 v[vgprG2LB+20], v[vgprGlobalReadOffsetB+20], s[sgprSrdB:sgprSrdB+3], 0, offen offset:0 // G -> Reg 0_0_20_0
v_mfma_f32_16x16x32_bf8_bf8 a[40+0:43+0], v[vgprValuB_X3_I0+2+0+0:vgprValuB_X3_I0+2+0+0+1], v[vgprValuA_X3_I0+4+0+0:vgprValuA_X3_I0+4+0+0+1], a[40:43]
/*  mfmaIndex:182  */
/* sched write - iter 3 writesPerItem=1 */
s_waitcnt vmcnt(0)                                 // lgkmcnt=-1 vmcnt=0wait for global read before writing to local
_ds_store_b32 v[vgprLocalWriteAddrB], v[vgprG2LB+21] offset:22848 // lwoB_0_0_21_0 = (0*LSCB)*(MT1J+PAD) + (21*LSPB) = 22848
v_mfma_f32_16x16x32_bf8_bf8 a[36+0:39+0], v[vgprValuB_X3_I0+2+0+0:vgprValuB_X3_I0+2+0+0+1], v[vgprValuA_X3_I0+2+0+0:vgprValuA_X3_I0+2+0+0+1], a[36:39]
/*  mfmaIndex:183  */
_buffer_load_b32 v[vgprG2LB+21], v[vgprGlobalReadOffsetB+21], s[sgprSrdB:sgprSrdB+3], 0, offen offset:0 // G -> Reg 0_0_21_0
v_mfma_f32_16x16x32_bf8_bf8 a[32+0:35+0], v[vgprValuB_X3_I0+2+0+0:vgprValuB_X3_I0+2+0+0+1], v[vgprValuA_X3_I0+0+0+0:vgprValuA_X3_I0+0+0+0+1], a[32:35]
/*  mfmaIndex:184  */
v_mfma_f32_16x16x32_bf8_bf8 a[64+0:67+0], v[vgprValuB_X3_I0+4+0+0:vgprValuB_X3_I0+4+0+0+1], v[vgprValuA_X3_I0+0+0+0:vgprValuA_X3_I0+0+0+0+1], a[64:67]
/*  mfmaIndex:185  */
/* sched write - iter 3 writesPerItem=1 */
s_waitcnt vmcnt(0)                                 // lgkmcnt=-1 vmcnt=0wait for global read before writing to local
_ds_store_b32 v[vgprLocalWriteAddrB], v[vgprG2LB+22] offset:23936 // lwoB_0_0_22_0 = (0*LSCB)*(MT1J+PAD) + (22*LSPB) = 23936
v_mfma_f32_16x16x32_bf8_bf8 a[68+0:71+0], v[vgprValuB_X3_I0+4+0+0:vgprValuB_X3_I0+4+0+0+1], v[vgprValuA_X3_I0+2+0+0:vgprValuA_X3_I0+2+0+0+1], a[68:71]
/*  mfmaIndex:186  */
_buffer_load_b32 v[vgprG2LB+22], v[vgprGlobalReadOffsetB+22], s[sgprSrdB:sgprSrdB+3], 0, offen offset:0 // G -> Reg 0_0_22_0
v_mfma_f32_16x16x32_bf8_bf8 a[72+0:75+0], v[vgprValuB_X3_I0+4+0+0:vgprValuB_X3_I0+4+0+0+1], v[vgprValuA_X3_I0+4+0+0:vgprValuA_X3_I0+4+0+0+1], a[72:75]
/*  mfmaIndex:187  */
/* sched write - iter 3 writesPerItem=1 */
s_waitcnt vmcnt(0)                                 // lgkmcnt=-1 vmcnt=0wait for global read before writing to local
_ds_store_b32 v[vgprLocalWriteAddrB], v[vgprG2LB+23] offset:25024 // lwoB_0_0_23_0 = (0*LSCB)*(MT1J+PAD) + (23*LSPB) = 25024
v_mfma_f32_16x16x32_bf8_bf8 a[76+0:79+0], v[vgprValuB_X3_I0+4+0+0:vgprValuB_X3_I0+4+0+0+1], v[vgprValuA_X3_I0+6+0+0:vgprValuA_X3_I0+6+0+0+1], a[76:79]
/*  mfmaIndex:188  */
_buffer_load_b32 v[vgprG2LB+23], v[vgprGlobalReadOffsetB+23], s[sgprSrdB:sgprSrdB+3], 0, offen offset:0 // G -> Reg 0_0_23_0
v_mfma_f32_16x16x32_bf8_bf8 a[80+0:83+0], v[vgprValuB_X3_I0+4+0+0:vgprValuB_X3_I0+4+0+0+1], v[vgprValuA_X3_I0+8+0+0:vgprValuA_X3_I0+8+0+0+1], a[80:83]
/*  mfmaIndex:189  */
v_mfma_f32_16x16x32_bf8_bf8 a[84+0:87+0], v[vgprValuB_X3_I0+4+0+0:vgprValuB_X3_I0+4+0+0+1], v[vgprValuA_X3_I0+10+0+0:vgprValuA_X3_I0+10+0+0+1], a[84:87]
/*  mfmaIndex:190  */
/* sched write - iter 3 writesPerItem=1 */
s_waitcnt vmcnt(0)                                 // lgkmcnt=-1 vmcnt=0wait for global read before writing to local
_ds_store_b32 v[vgprLocalWriteAddrB], v[vgprG2LB+24] offset:26112 // lwoB_0_0_24_0 = (0*LSCB)*(MT1J+PAD) + (24*LSPB) = 26112
v_mfma_f32_16x16x32_bf8_bf8 a[88+0:91+0], v[vgprValuB_X3_I0+4+0+0:vgprValuB_X3_I0+4+0+0+1], v[vgprValuA_X3_I0+12+0+0:vgprValuA_X3_I0+12+0+0+1], a[88:91]
/*  mfmaIndex:191  */
_buffer_load_b32 v[vgprG2LB+24], v[vgprGlobalReadOffsetB+24], s[sgprSrdB:sgprSrdB+3], 0, offen offset:0 // G -> Reg 0_0_24_0
v_mfma_f32_16x16x32_bf8_bf8 a[92+0:95+0], v[vgprValuB_X3_I0+4+0+0:vgprValuB_X3_I0+4+0+0+1], v[vgprValuA_X3_I0+14+0+0:vgprValuA_X3_I0+14+0+0+1], a[92:95]
/*  mfmaIndex:192  */
/* sched write - iter 3 writesPerItem=1 */
s_waitcnt vmcnt(0)                                 // lgkmcnt=-1 vmcnt=0wait for global read before writing to local
_ds_store_b32 v[vgprLocalWriteAddrB], v[vgprG2LB+25] offset:27200 // lwoB_0_0_25_0 = (0*LSCB)*(MT1J+PAD) + (25*LSPB) = 27200
v_mfma_f32_16x16x32_bf8_bf8 a[124+0:127+0], v[vgprValuB_X3_I0+6+0+0:vgprValuB_X3_I0+6+0+0+1], v[vgprValuA_X3_I0+14+0+0:vgprValuA_X3_I0+14+0+0+1], a[124:127]
/*  mfmaIndex:193  */
_buffer_load_b32 v[vgprG2LB+25], v[vgprGlobalReadOffsetB+25], s[sgprSrdB:sgprSrdB+3], 0, offen offset:0 // G -> Reg 0_0_25_0
v_mfma_f32_16x16x32_bf8_bf8 a[120+0:123+0], v[vgprValuB_X3_I0+6+0+0:vgprValuB_X3_I0+6+0+0+1], v[vgprValuA_X3_I0+12+0+0:vgprValuA_X3_I0+12+0+0+1], a[120:123]
/*  mfmaIndex:194  */
v_mfma_f32_16x16x32_bf8_bf8 a[116+0:119+0], v[vgprValuB_X3_I0+6+0+0:vgprValuB_X3_I0+6+0+0+1], v[vgprValuA_X3_I0+10+0+0:vgprValuA_X3_I0+10+0+0+1], a[116:119]
/*  mfmaIndex:195  */
/* sched write - iter 3 writesPerItem=1 */
s_waitcnt vmcnt(0)                                 // lgkmcnt=-1 vmcnt=0wait for global read before writing to local
_ds_store_b32 v[vgprLocalWriteAddrB], v[vgprG2LB+26] offset:28288 // lwoB_0_0_26_0 = (0*LSCB)*(MT1J+PAD) + (26*LSPB) = 28288
v_mfma_f32_16x16x32_bf8_bf8 a[112+0:115+0], v[vgprValuB_X3_I0+6+0+0:vgprValuB_X3_I0+6+0+0+1], v[vgprValuA_X3_I0+8+0+0:vgprValuA_X3_I0+8+0+0+1], a[112:115]
/*  mfmaIndex:196  */
_buffer_load_b32 v[vgprG2LB+26], v[vgprGlobalReadOffsetB+26], s[sgprSrdB:sgprSrdB+3], 0, offen offset:0 // G -> Reg 0_0_26_0
v_mfma_f32_16x16x32_bf8_bf8 a[108+0:111+0], v[vgprValuB_X3_I0+6+0+0:vgprValuB_X3_I0+6+0+0+1], v[vgprValuA_X3_I0+6+0+0:vgprValuA_X3_I0+6+0+0+1], a[108:111]
/*  mfmaIndex:197  */
/* sched write - iter 3 writesPerItem=1 */
s_waitcnt vmcnt(0)                                 // lgkmcnt=-1 vmcnt=0wait for global read before writing to local
_ds_store_b32 v[vgprLocalWriteAddrB], v[vgprG2LB+27] offset:29376 // lwoB_0_0_27_0 = (0*LSCB)*(MT1J+PAD) + (27*LSPB) = 29376
v_mfma_f32_16x16x32_bf8_bf8 a[104+0:107+0], v[vgprValuB_X3_I0+6+0+0:vgprValuB_X3_I0+6+0+0+1], v[vgprValuA_X3_I0+4+0+0:vgprValuA_X3_I0+4+0+0+1], a[104:107]
/*  mfmaIndex:198  */
_buffer_load_b32 v[vgprG2LB+27], v[vgprGlobalReadOffsetB+27], s[sgprSrdB:sgprSrdB+3], 0, offen offset:0 // G -> Reg 0_0_27_0

/* local write swap offsets a */

/* local write swap offsets b */
v_mfma_f32_16x16x32_bf8_bf8 a[100+0:103+0], v[vgprValuB_X3_I0+6+0+0:vgprValuB_X3_I0+6+0+0+1], v[vgprValuA_X3_I0+2+0+0:vgprValuA_X3_I0+2+0+0+1], a[100:103]
/*  mfmaIndex:199  */
v_mfma_f32_16x16x32_bf8_bf8 a[96+0:99+0], v[vgprValuB_X3_I0+6+0+0:vgprValuB_X3_I0+6+0+0+1], v[vgprValuA_X3_I0+0+0+0:vgprValuA_X3_I0+0+0+0+1], a[96:99]
/*  mfmaIndex:200  */
	;; [unrolled: 2-line block ×4, first 2 shown]
v_mfma_f32_16x16x32_bf8_bf8 a[136+0:139+0], v[vgprValuB_X3_I0+8+0+0:vgprValuB_X3_I0+8+0+0+1], v[vgprValuA_X3_I0+4+0+0:vgprValuA_X3_I0+4+0+0+1], a[136:139]
s_setprio 0                                        // store optimization
/*  mfmaIndex:203  */
s_waitcnt lgkmcnt(0)                               // lgkmcnt=0 vmcnt=-13wait for local write
// Skip force waitcnt0
s_barrier //
v_mfma_f32_16x16x32_bf8_bf8 a[140+0:143+0], v[vgprValuB_X3_I0+8+0+0:vgprValuB_X3_I0+8+0+0+1], v[vgprValuA_X3_I0+6+0+0:vgprValuA_X3_I0+6+0+0+1], a[140:143]
/*  mfmaIndex:204  */
s_setprio 3                                        // store optimization
_ds_load_b64 v[vgprValuA_X0_I0+0:vgprValuA_X0_I0+0+1], v[vgprLocalReadAddrA] offset:0 // L -> Reg lro=0 swapByteOffset=0 ti=256 vIdx=0 rIdx=0 oIdx=0 buffer=0 iui=0
v_mfma_f32_16x16x32_bf8_bf8 a[144+0:147+0], v[vgprValuB_X3_I0+8+0+0:vgprValuB_X3_I0+8+0+0+1], v[vgprValuA_X3_I0+8+0+0:vgprValuA_X3_I0+8+0+0+1], a[144:147]
/*  mfmaIndex:205  */
_ds_load_b64 v[vgprValuB_X0_I0+0:vgprValuB_X0_I0+0+1], v[vgprLocalReadAddrB] offset:0 // L -> Reg lro=0 swapByteOffset=0 ti=32 vIdx=0 rIdx=0 oIdx=0 buffer=0 iui=0
v_mfma_f32_16x16x32_bf8_bf8 a[148+0:151+0], v[vgprValuB_X3_I0+8+0+0:vgprValuB_X3_I0+8+0+0+1], v[vgprValuA_X3_I0+10+0+0:vgprValuA_X3_I0+10+0+0+1], a[148:151]
/*  mfmaIndex:206  */
_ds_load_b64 v[vgprValuA_X0_I0+2:vgprValuA_X0_I0+2+1], v[vgprLocalReadAddrA] offset:128 // L -> Reg lro=0 swapByteOffset=0 ti=256 vIdx=0 rIdx=0 oIdx=0 buffer=0 iui=0
v_mfma_f32_16x16x32_bf8_bf8 a[152+0:155+0], v[vgprValuB_X3_I0+8+0+0:vgprValuB_X3_I0+8+0+0+1], v[vgprValuA_X3_I0+12+0+0:vgprValuA_X3_I0+12+0+0+1], a[152:155]
/*  mfmaIndex:207  */
_ds_load_b64 v[vgprValuA_X0_I0+4:vgprValuA_X0_I0+4+1], v[vgprLocalReadAddrA] offset:256 // L -> Reg lro=0 swapByteOffset=0 ti=256 vIdx=0 rIdx=0 oIdx=0 buffer=0 iui=0
	;; [unrolled: 3-line block ×7, first 2 shown]
v_mfma_f32_16x16x32_bf8_bf8 a[172+0:175+0], v[vgprValuB_X3_I0+10+0+0:vgprValuB_X3_I0+10+0+0+1], v[vgprValuA_X3_I0+6+0+0:vgprValuA_X3_I0+6+0+0+1], a[172:175]
/*  mfmaIndex:213  */
_ds_load_b64 v[vgprValuB_X0_I0+2:vgprValuB_X0_I0+2+1], v[vgprLocalReadAddrB] offset:4352 // L -> Reg lro=0 swapByteOffset=0 ti=32 vIdx=1 rIdx=0 oIdx=0 buffer=0 iui=0
v_mfma_f32_16x16x32_bf8_bf8 a[168+0:171+0], v[vgprValuB_X3_I0+10+0+0:vgprValuB_X3_I0+10+0+0+1], v[vgprValuA_X3_I0+4+0+0:vgprValuA_X3_I0+4+0+0+1], a[168:171]
/*  mfmaIndex:214  */
_ds_load_b64 v[vgprValuB_X0_I0+4:vgprValuB_X0_I0+4+1], v[vgprLocalReadAddrB] offset:8704 // L -> Reg lro=0 swapByteOffset=0 ti=32 vIdx=2 rIdx=0 oIdx=0 buffer=0 iui=0
	;; [unrolled: 3-line block ×6, first 2 shown]
v_mfma_f32_16x16x32_bf8_bf8 a[200+0:203+0], v[vgprValuB_X3_I0+12+0+0:vgprValuB_X3_I0+12+0+0+1], v[vgprValuA_X3_I0+4+0+0:vgprValuA_X3_I0+4+0+0+1], a[200:203]
/*  mfmaIndex:219  */
v_mfma_f32_16x16x32_bf8_bf8 a[204+0:207+0], v[vgprValuB_X3_I0+12+0+0:vgprValuB_X3_I0+12+0+0+1], v[vgprValuA_X3_I0+6+0+0:vgprValuA_X3_I0+6+0+0+1], a[204:207]
/*  mfmaIndex:220  */
	;; [unrolled: 2-line block ×5, first 2 shown]
v_mfma_f32_16x16x32_bf8_bf8 a[220+0:223+0], v[vgprValuB_X3_I0+12+0+0:vgprValuB_X3_I0+12+0+0+1], v[vgprValuA_X3_I0+14+0+0:vgprValuA_X3_I0+14+0+0+1], a[220:223]
s_setprio 0                                        // store optimization


/******************************************/
/* Unrolled Loop - End 2/2 (final)        */
/******************************************/


/* closeLoop loopL finalLoop=1 tailLoop=0 */
s_sub_u32 s[sgprLoopCounterL], s[sgprLoopCounterL], 1 // dec counterL
s_cmp_eq_i32 s[sgprLoopCounterL], 0x2              // counterL==2
s_cbranch_scc0 LoopBeginL_1                        // restart LoopL
LoopEndL_evenexit_4: // unroll loop eveniter exit
s_branch LoopEndL_2                                // exit unroll loopL (and skip second exit code)
LoopEndL_oddexit_3: // unroll loop odditer exit

/* Select high bank of LDS */
LoopEndL_2:


/* Before NLL: Check VGPR.checkin for INT8 LW */


/******************************************/
/* Ord. NoGlobalLoadLoop - Begin                                      */
/******************************************/



/* iter 0 */

/*  grEndMfmaIndex:18, lwStartMfmaIndex:52, lwEndMfmaIndex:198  */
/*  numMfmaForLR:20, barrierMfmaIndex:203, LocalWritePerMfma:0.405 */
/*  mfmaIndex:0  */
s_waitcnt lgkmcnt(0)                               // lgkmcnt=0 vmcnt=-1wait for prior local read local write old=0, new=0 newLW=0 newLR=0
v_mfma_f32_16x16x32_bf8_bf8 a[0+0:3+0], v[vgprValuB_X0_I0+0+0+0:vgprValuB_X0_I0+0+0+0+1], v[vgprValuA_X0_I0+0+0+0:vgprValuA_X0_I0+0+0+0+1], a[0:3]
/*  mfmaIndex:1  */
_ds_load_b64 v[vgprValuA_X1_I0+0:vgprValuA_X1_I0+0+1], v[vgprLocalReadAddrA] offset:32 // L -> Reg lro=32 swapByteOffset=0 ti=256 vIdx=0 rIdx=0 oIdx=0 buffer=1 iui=0

/* global read inc A loopL */
s_cmp_eq_u32 s[sgprLoopCounterL], s[sgprStaggerUIter] // Is this the wrapIter?
v_mfma_f32_16x16x32_bf8_bf8 a[4+0:7+0], v[vgprValuB_X0_I0+0+0+0:vgprValuB_X0_I0+0+0+0+1], v[vgprValuA_X0_I0+2+0+0:vgprValuA_X0_I0+2+0+0+1], a[4:7]
/*  mfmaIndex:2  */
_ds_load_b64 v[vgprValuB_X1_I0+0:vgprValuB_X1_I0+0+1], v[vgprLocalReadAddrB] offset:32 // L -> Reg lro=32 swapByteOffset=0 ti=32 vIdx=0 rIdx=0 oIdx=0 buffer=1 iui=0
s_cselect_b32 s56, s[sgprWrapUA+0], s[sgprGlobalReadIncsA+0] // incLower <- ?
v_mfma_f32_16x16x32_bf8_bf8 a[8+0:11+0], v[vgprValuB_X0_I0+0+0+0:vgprValuB_X0_I0+0+0+0+1], v[vgprValuA_X0_I0+4+0+0:vgprValuA_X0_I0+4+0+0+1], a[8:11]
/*  mfmaIndex:3  */
_ds_load_b64 v[vgprValuA_X1_I0+2:vgprValuA_X1_I0+2+1], v[vgprLocalReadAddrA] offset:160 // L -> Reg lro=32 swapByteOffset=0 ti=256 vIdx=0 rIdx=0 oIdx=0 buffer=1 iui=0
s_cselect_b32 s57, s[sgprWrapUA+1], 0              // incUpper <- ?
v_mfma_f32_16x16x32_bf8_bf8 a[12+0:15+0], v[vgprValuB_X0_I0+0+0+0:vgprValuB_X0_I0+0+0+0+1], v[vgprValuA_X0_I0+6+0+0:vgprValuA_X0_I0+6+0+0+1], a[12:15]
/*  mfmaIndex:4  */
_ds_load_b64 v[vgprValuA_X1_I0+4:vgprValuA_X1_I0+4+1], v[vgprLocalReadAddrA] offset:288 // L -> Reg lro=32 swapByteOffset=0 ti=256 vIdx=0 rIdx=0 oIdx=0 buffer=1 iui=0
s_add_u32 s[sgprSrdA+0], s[sgprSrdA+0], s56        // gra SRD += inc(lower)
v_mfma_f32_16x16x32_bf8_bf8 a[16+0:19+0], v[vgprValuB_X0_I0+0+0+0:vgprValuB_X0_I0+0+0+0+1], v[vgprValuA_X0_I0+8+0+0:vgprValuA_X0_I0+8+0+0+1], a[16:19]
/*  mfmaIndex:5  */
_ds_load_b64 v[vgprValuA_X1_I0+6:vgprValuA_X1_I0+6+1], v[vgprLocalReadAddrA] offset:416 // L -> Reg lro=32 swapByteOffset=0 ti=256 vIdx=0 rIdx=0 oIdx=0 buffer=1 iui=0
s_addc_u32  s[sgprSrdA+1], s[sgprSrdA+1], s57      // gra SRD += inc(upper)
v_mfma_f32_16x16x32_bf8_bf8 a[20+0:23+0], v[vgprValuB_X0_I0+0+0+0:vgprValuB_X0_I0+0+0+0+1], v[vgprValuA_X0_I0+10+0+0:vgprValuA_X0_I0+10+0+0+1], a[20:23]
/*  mfmaIndex:6  */
_ds_load_b64 v[vgprValuA_X1_I0+8:vgprValuA_X1_I0+8+1], v[vgprLocalReadAddrA] offset:544 // L -> Reg lro=32 swapByteOffset=0 ti=256 vIdx=0 rIdx=0 oIdx=0 buffer=1 iui=0
s_sub_u32 s[sgprShadowLimitA+0], s[sgprShadowLimitA+0], s56 // limit -= inc)
v_mfma_f32_16x16x32_bf8_bf8 a[24+0:27+0], v[vgprValuB_X0_I0+0+0+0:vgprValuB_X0_I0+0+0+0+1], v[vgprValuA_X0_I0+12+0+0:vgprValuA_X0_I0+12+0+0+1], a[24:27]
/*  mfmaIndex:7  */
_ds_load_b64 v[vgprValuA_X1_I0+10:vgprValuA_X1_I0+10+1], v[vgprLocalReadAddrA] offset:672 // L -> Reg lro=32 swapByteOffset=0 ti=256 vIdx=0 rIdx=0 oIdx=0 buffer=1 iui=0
s_subb_u32 s[sgprShadowLimitA+1], s[sgprShadowLimitA+1], s57 // limit -= inc)
v_mfma_f32_16x16x32_bf8_bf8 a[28+0:31+0], v[vgprValuB_X0_I0+0+0+0:vgprValuB_X0_I0+0+0+0+1], v[vgprValuA_X0_I0+14+0+0:vgprValuA_X0_I0+14+0+0+1], a[28:31]
/*  mfmaIndex:8  */
_ds_load_b64 v[vgprValuA_X1_I0+12:vgprValuA_X1_I0+12+1], v[vgprLocalReadAddrA] offset:800 // L -> Reg lro=32 swapByteOffset=0 ti=256 vIdx=0 rIdx=0 oIdx=0 buffer=1 iui=0
s_cmp_eq_u32 s[sgprShadowLimitA+1], 0              // are we within 2^32?
v_mfma_f32_16x16x32_bf8_bf8 a[60+0:63+0], v[vgprValuB_X0_I0+2+0+0:vgprValuB_X0_I0+2+0+0+1], v[vgprValuA_X0_I0+14+0+0:vgprValuA_X0_I0+14+0+0+1], a[60:63]
/*  mfmaIndex:9  */
_ds_load_b64 v[vgprValuA_X1_I0+14:vgprValuA_X1_I0+14+1], v[vgprLocalReadAddrA] offset:928 // L -> Reg lro=32 swapByteOffset=0 ti=256 vIdx=0 rIdx=0 oIdx=0 buffer=1 iui=0
s_cselect_b32 s[sgprSrdA+2], s[sgprShadowLimitA+0], BufferLimitA // Move shadow to real if we are within 2^32
v_mfma_f32_16x16x32_bf8_bf8 a[56+0:59+0], v[vgprValuB_X0_I0+2+0+0:vgprValuB_X0_I0+2+0+0+1], v[vgprValuA_X0_I0+12+0+0:vgprValuA_X0_I0+12+0+0+1], a[56:59]
/*  mfmaIndex:10  */
_ds_load_b64 v[vgprValuB_X1_I0+2:vgprValuB_X1_I0+2+1], v[vgprLocalReadAddrB] offset:4384 // L -> Reg lro=32 swapByteOffset=0 ti=32 vIdx=1 rIdx=0 oIdx=0 buffer=1 iui=0

/* global read inc B loopL */
s_cmp_eq_u32 s[sgprLoopCounterL], s[sgprStaggerUIter] // Is this the wrapIter?
v_mfma_f32_16x16x32_bf8_bf8 a[52+0:55+0], v[vgprValuB_X0_I0+2+0+0:vgprValuB_X0_I0+2+0+0+1], v[vgprValuA_X0_I0+10+0+0:vgprValuA_X0_I0+10+0+0+1], a[52:55]
/*  mfmaIndex:11  */
_ds_load_b64 v[vgprValuB_X1_I0+4:vgprValuB_X1_I0+4+1], v[vgprLocalReadAddrB] offset:8736 // L -> Reg lro=32 swapByteOffset=0 ti=32 vIdx=2 rIdx=0 oIdx=0 buffer=1 iui=0
s_cselect_b32 s56, s[sgprWrapUB+0], s[sgprGlobalReadIncsB+0] // incLower <- ?
v_mfma_f32_16x16x32_bf8_bf8 a[48+0:51+0], v[vgprValuB_X0_I0+2+0+0:vgprValuB_X0_I0+2+0+0+1], v[vgprValuA_X0_I0+8+0+0:vgprValuA_X0_I0+8+0+0+1], a[48:51]
/*  mfmaIndex:12  */
_ds_load_b64 v[vgprValuB_X1_I0+6:vgprValuB_X1_I0+6+1], v[vgprLocalReadAddrB] offset:13088 // L -> Reg lro=32 swapByteOffset=0 ti=32 vIdx=3 rIdx=0 oIdx=0 buffer=1 iui=0
s_cselect_b32 s57, s[sgprWrapUB+1], 0              // incUpper <- ?
v_mfma_f32_16x16x32_bf8_bf8 a[44+0:47+0], v[vgprValuB_X0_I0+2+0+0:vgprValuB_X0_I0+2+0+0+1], v[vgprValuA_X0_I0+6+0+0:vgprValuA_X0_I0+6+0+0+1], a[44:47]
/*  mfmaIndex:13  */
_ds_load_b64 v[vgprValuB_X1_I0+8:vgprValuB_X1_I0+8+1], v[vgprLocalReadAddrB] offset:17440 // L -> Reg lro=32 swapByteOffset=0 ti=32 vIdx=4 rIdx=0 oIdx=0 buffer=1 iui=0
s_add_u32 s[sgprSrdB+0], s[sgprSrdB+0], s56        // gra SRD += inc(lower)
v_mfma_f32_16x16x32_bf8_bf8 a[40+0:43+0], v[vgprValuB_X0_I0+2+0+0:vgprValuB_X0_I0+2+0+0+1], v[vgprValuA_X0_I0+4+0+0:vgprValuA_X0_I0+4+0+0+1], a[40:43]
/*  mfmaIndex:14  */
_ds_load_b64 v[vgprValuB_X1_I0+10:vgprValuB_X1_I0+10+1], v[vgprLocalReadAddrB] offset:21792 // L -> Reg lro=32 swapByteOffset=0 ti=32 vIdx=5 rIdx=0 oIdx=0 buffer=1 iui=0
s_addc_u32  s[sgprSrdB+1], s[sgprSrdB+1], s57      // gra SRD += inc(upper)
v_mfma_f32_16x16x32_bf8_bf8 a[36+0:39+0], v[vgprValuB_X0_I0+2+0+0:vgprValuB_X0_I0+2+0+0+1], v[vgprValuA_X0_I0+2+0+0:vgprValuA_X0_I0+2+0+0+1], a[36:39]
/*  mfmaIndex:15  */
_ds_load_b64 v[vgprValuB_X1_I0+12:vgprValuB_X1_I0+12+1], v[vgprLocalReadAddrB] offset:26144 // L -> Reg lro=32 swapByteOffset=0 ti=32 vIdx=6 rIdx=0 oIdx=0 buffer=1 iui=0
s_sub_u32 s[sgprShadowLimitB+0], s[sgprShadowLimitB+0], s56 // limit -= inc)
v_mfma_f32_16x16x32_bf8_bf8 a[32+0:35+0], v[vgprValuB_X0_I0+2+0+0:vgprValuB_X0_I0+2+0+0+1], v[vgprValuA_X0_I0+0+0+0:vgprValuA_X0_I0+0+0+0+1], a[32:35]
/*  mfmaIndex:16  */
/* localReadsVacancy: latencyLeft 2 */
_ds_load_b64 v[vgprValuA_X2_I0+0:vgprValuA_X2_I0+0+1], v[vgprLocalReadAddrA] offset:64 // L -> Reg lro=64 swapByteOffset=0 ti=256 vIdx=0 rIdx=0 oIdx=0 buffer=2 iui=0
s_subb_u32 s[sgprShadowLimitB+1], s[sgprShadowLimitB+1], s57 // limit -= inc)
v_mfma_f32_16x16x32_bf8_bf8 a[64+0:67+0], v[vgprValuB_X0_I0+4+0+0:vgprValuB_X0_I0+4+0+0+1], v[vgprValuA_X0_I0+0+0+0:vgprValuA_X0_I0+0+0+0+1], a[64:67]
/*  mfmaIndex:17  */
/* localReadsVacancy: latencyLeft 2 */
_ds_load_b64 v[vgprValuB_X2_I0+0:vgprValuB_X2_I0+0+1], v[vgprLocalReadAddrB] offset:64 // L -> Reg lro=64 swapByteOffset=0 ti=32 vIdx=0 rIdx=0 oIdx=0 buffer=2 iui=0
s_cmp_eq_u32 s[sgprShadowLimitB+1], 0              // are we within 2^32?
v_mfma_f32_16x16x32_bf8_bf8 a[68+0:71+0], v[vgprValuB_X0_I0+4+0+0:vgprValuB_X0_I0+4+0+0+1], v[vgprValuA_X0_I0+2+0+0:vgprValuA_X0_I0+2+0+0+1], a[68:71]
/*  mfmaIndex:18  */
/* localReadsVacancy: latencyLeft 2 */
_ds_load_b64 v[vgprValuA_X2_I0+2:vgprValuA_X2_I0+2+1], v[vgprLocalReadAddrA] offset:192 // L -> Reg lro=64 swapByteOffset=0 ti=256 vIdx=0 rIdx=0 oIdx=0 buffer=2 iui=0
s_cselect_b32 s[sgprSrdB+2], s[sgprShadowLimitB+0], BufferLimitB // Move shadow to real if we are within 2^32
v_mfma_f32_16x16x32_bf8_bf8 a[72+0:75+0], v[vgprValuB_X0_I0+4+0+0:vgprValuB_X0_I0+4+0+0+1], v[vgprValuA_X0_I0+4+0+0:vgprValuA_X0_I0+4+0+0+1], a[72:75]
/*  mfmaIndex:19  */
/* localReadsVacancy: latencyLeft 2 */
_ds_load_b64 v[vgprValuA_X2_I0+4:vgprValuA_X2_I0+4+1], v[vgprLocalReadAddrA] offset:320 // L -> Reg lro=64 swapByteOffset=0 ti=256 vIdx=0 rIdx=0 oIdx=0 buffer=2 iui=0
v_mfma_f32_16x16x32_bf8_bf8 a[76+0:79+0], v[vgprValuB_X0_I0+4+0+0:vgprValuB_X0_I0+4+0+0+1], v[vgprValuA_X0_I0+6+0+0:vgprValuA_X0_I0+6+0+0+1], a[76:79]
/*  mfmaIndex:20  */
/* localReadsVacancy: latencyLeft 2 */
_ds_load_b64 v[vgprValuA_X2_I0+6:vgprValuA_X2_I0+6+1], v[vgprLocalReadAddrA] offset:448 // L -> Reg lro=64 swapByteOffset=0 ti=256 vIdx=0 rIdx=0 oIdx=0 buffer=2 iui=0
	;; [unrolled: 4-line block ×6, first 2 shown]
v_mfma_f32_16x16x32_bf8_bf8 a[124+0:127+0], v[vgprValuB_X0_I0+6+0+0:vgprValuB_X0_I0+6+0+0+1], v[vgprValuA_X0_I0+14+0+0:vgprValuA_X0_I0+14+0+0+1], a[124:127]
/*  mfmaIndex:25  */
/* localReadsVacancy: latencyLeft 2 */
_ds_load_b64 v[vgprValuB_X2_I0+2:vgprValuB_X2_I0+2+1], v[vgprLocalReadAddrB] offset:4416 // L -> Reg lro=64 swapByteOffset=0 ti=32 vIdx=1 rIdx=0 oIdx=0 buffer=2 iui=0
v_mfma_f32_16x16x32_bf8_bf8 a[120+0:123+0], v[vgprValuB_X0_I0+6+0+0:vgprValuB_X0_I0+6+0+0+1], v[vgprValuA_X0_I0+12+0+0:vgprValuA_X0_I0+12+0+0+1], a[120:123]
/*  mfmaIndex:26  */
/* localReadsVacancy: latencyLeft 2 */
_ds_load_b64 v[vgprValuB_X2_I0+4:vgprValuB_X2_I0+4+1], v[vgprLocalReadAddrB] offset:8768 // L -> Reg lro=64 swapByteOffset=0 ti=32 vIdx=2 rIdx=0 oIdx=0 buffer=2 iui=0
	;; [unrolled: 4-line block ×6, first 2 shown]
v_mfma_f32_16x16x32_bf8_bf8 a[100+0:103+0], v[vgprValuB_X0_I0+6+0+0:vgprValuB_X0_I0+6+0+0+1], v[vgprValuA_X0_I0+2+0+0:vgprValuA_X0_I0+2+0+0+1], a[100:103]
/*  mfmaIndex:31  */
/* localReadsVacancy: latencyLeft 2 */
_ds_load_b64 v[vgprValuA_X3_I0+0:vgprValuA_X3_I0+0+1], v[vgprLocalReadAddrA] offset:96 // L -> Reg lro=96 swapByteOffset=0 ti=256 vIdx=0 rIdx=0 oIdx=0 buffer=3 iui=0
v_mfma_f32_16x16x32_bf8_bf8 a[96+0:99+0], v[vgprValuB_X0_I0+6+0+0:vgprValuB_X0_I0+6+0+0+1], v[vgprValuA_X0_I0+0+0+0:vgprValuA_X0_I0+0+0+0+1], a[96:99]
/*  mfmaIndex:32  */
/* localReadsVacancy: latencyLeft 2 */
_ds_load_b64 v[vgprValuB_X3_I0+0:vgprValuB_X3_I0+0+1], v[vgprLocalReadAddrB] offset:96 // L -> Reg lro=96 swapByteOffset=0 ti=32 vIdx=0 rIdx=0 oIdx=0 buffer=3 iui=0
v_mfma_f32_16x16x32_bf8_bf8 a[128+0:131+0], v[vgprValuB_X0_I0+8+0+0:vgprValuB_X0_I0+8+0+0+1], v[vgprValuA_X0_I0+0+0+0:vgprValuA_X0_I0+0+0+0+1], a[128:131]
/*  mfmaIndex:33  */
/* localReadsVacancy: latencyLeft 2 */
_ds_load_b64 v[vgprValuA_X3_I0+2:vgprValuA_X3_I0+2+1], v[vgprLocalReadAddrA] offset:224 // L -> Reg lro=96 swapByteOffset=0 ti=256 vIdx=0 rIdx=0 oIdx=0 buffer=3 iui=0
v_mfma_f32_16x16x32_bf8_bf8 a[132+0:135+0], v[vgprValuB_X0_I0+8+0+0:vgprValuB_X0_I0+8+0+0+1], v[vgprValuA_X0_I0+2+0+0:vgprValuA_X0_I0+2+0+0+1], a[132:135]
/*  mfmaIndex:34  */
/* localReadsVacancy: latencyLeft 2 */
_ds_load_b64 v[vgprValuA_X3_I0+4:vgprValuA_X3_I0+4+1], v[vgprLocalReadAddrA] offset:352 // L -> Reg lro=96 swapByteOffset=0 ti=256 vIdx=0 rIdx=0 oIdx=0 buffer=3 iui=0
	;; [unrolled: 4-line block ×7, first 2 shown]
v_mfma_f32_16x16x32_bf8_bf8 a[156+0:159+0], v[vgprValuB_X0_I0+8+0+0:vgprValuB_X0_I0+8+0+0+1], v[vgprValuA_X0_I0+14+0+0:vgprValuA_X0_I0+14+0+0+1], a[156:159]
/*  mfmaIndex:40  */
/* localReadsVacancy: latencyLeft 2 */
_ds_load_b64 v[vgprValuB_X3_I0+2:vgprValuB_X3_I0+2+1], v[vgprLocalReadAddrB] offset:4448 // L -> Reg lro=96 swapByteOffset=0 ti=32 vIdx=1 rIdx=0 oIdx=0 buffer=3 iui=0
v_mfma_f32_16x16x32_bf8_bf8 a[188+0:191+0], v[vgprValuB_X0_I0+10+0+0:vgprValuB_X0_I0+10+0+0+1], v[vgprValuA_X0_I0+14+0+0:vgprValuA_X0_I0+14+0+0+1], a[188:191]
/*  mfmaIndex:41  */
/* localReadsVacancy: latencyLeft 2 */
_ds_load_b64 v[vgprValuB_X3_I0+4:vgprValuB_X3_I0+4+1], v[vgprLocalReadAddrB] offset:8800 // L -> Reg lro=96 swapByteOffset=0 ti=32 vIdx=2 rIdx=0 oIdx=0 buffer=3 iui=0
	;; [unrolled: 4-line block ×6, first 2 shown]
v_mfma_f32_16x16x32_bf8_bf8 a[168+0:171+0], v[vgprValuB_X0_I0+10+0+0:vgprValuB_X0_I0+10+0+0+1], v[vgprValuA_X0_I0+4+0+0:vgprValuA_X0_I0+4+0+0+1], a[168:171]
/*  mfmaIndex:46  */
/* localReadsVacancy: latencyLeft 2 */
v_mfma_f32_16x16x32_bf8_bf8 a[164+0:167+0], v[vgprValuB_X0_I0+10+0+0:vgprValuB_X0_I0+10+0+0+1], v[vgprValuA_X0_I0+2+0+0:vgprValuA_X0_I0+2+0+0+1], a[164:167]
/*  mfmaIndex:47  */
/* localReadsVacancy: latencyLeft 2 */
	;; [unrolled: 3-line block ×6, first 2 shown]
/* 1 LDS buffer: read-sync-write */
s_waitcnt lgkmcnt(0)                               // 
s_barrier                                          // 
v_mfma_f32_16x16x32_bf8_bf8 a[204+0:207+0], v[vgprValuB_X0_I0+12+0+0:vgprValuB_X0_I0+12+0+0+1], v[vgprValuA_X0_I0+6+0+0:vgprValuA_X0_I0+6+0+0+1], a[204:207]
/*  mfmaIndex:52  */
s_setprio 3                                        // store optimization
/* sched write - iter 0 writesPerItem=1 */
s_waitcnt vmcnt(0)                                 // lgkmcnt=-1 vmcnt=0wait for global read before writing to local
_ds_store_b32 v[vgprLocalWriteAddrA], v[vgprG2LA+0] offset:0 // lwoA_0_0_0_0 = (0*LSCA)*(MT0I+PAD) + (0*LSPA) = 0
v_mfma_f32_16x16x32_bf8_bf8 a[208+0:211+0], v[vgprValuB_X0_I0+12+0+0:vgprValuB_X0_I0+12+0+0+1], v[vgprValuA_X0_I0+8+0+0:vgprValuA_X0_I0+8+0+0+1], a[208:211]
/*  mfmaIndex:53  */
v_mfma_f32_16x16x32_bf8_bf8 a[212+0:215+0], v[vgprValuB_X0_I0+12+0+0:vgprValuB_X0_I0+12+0+0+1], v[vgprValuA_X0_I0+10+0+0:vgprValuA_X0_I0+10+0+0+1], a[212:215]
/*  mfmaIndex:54  */
/* sched write - iter 0 writesPerItem=1 */
s_waitcnt vmcnt(0)                                 // lgkmcnt=-1 vmcnt=0wait for global read before writing to local
_ds_store_b32 v[vgprLocalWriteAddrA], v[vgprG2LA+1] offset:1032 // lwoA_0_0_1_0 = (0*LSCA)*(MT0I+PAD) + (1*LSPA) = 1032
v_mfma_f32_16x16x32_bf8_bf8 a[216+0:219+0], v[vgprValuB_X0_I0+12+0+0:vgprValuB_X0_I0+12+0+0+1], v[vgprValuA_X0_I0+12+0+0:vgprValuA_X0_I0+12+0+0+1], a[216:219]
/*  mfmaIndex:55  */
v_mfma_f32_16x16x32_bf8_bf8 a[220+0:223+0], v[vgprValuB_X0_I0+12+0+0:vgprValuB_X0_I0+12+0+0+1], v[vgprValuA_X0_I0+14+0+0:vgprValuA_X0_I0+14+0+0+1], a[220:223]
/* numPrefetchIter=0 */
/* dataAtIterA=-1 numReadsIterA=1 skipReadsIterA=1 readsPerIterA=8 */
/* dataAtIterB=-1 numReadsIterB=1 skipReadsIterB=1 readsPerIterB=7 */


/* iter 1 */

/*  grEndMfmaIndex:18, lwStartMfmaIndex:52, lwEndMfmaIndex:198  */
/*  numMfmaForLR:20, barrierMfmaIndex:203, LocalWritePerMfma:0.405 */
/*  mfmaIndex:56  */
/* sched write - iter 1 writesPerItem=1 */
s_waitcnt vmcnt(0)                                 // lgkmcnt=-1 vmcnt=0wait for global read before writing to local
_ds_store_b32 v[vgprLocalWriteAddrA], v[vgprG2LA+2] offset:2064 // lwoA_0_0_2_0 = (0*LSCA)*(MT0I+PAD) + (2*LSPA) = 2064
v_mfma_f32_16x16x32_bf8_bf8 a[0+0:3+0], v[vgprValuB_X1_I0+0+0+0:vgprValuB_X1_I0+0+0+0+1], v[vgprValuA_X1_I0+0+0+0:vgprValuA_X1_I0+0+0+0+1], a[0:3]
/*  mfmaIndex:57  */
v_mfma_f32_16x16x32_bf8_bf8 a[4+0:7+0], v[vgprValuB_X1_I0+0+0+0:vgprValuB_X1_I0+0+0+0+1], v[vgprValuA_X1_I0+2+0+0:vgprValuA_X1_I0+2+0+0+1], a[4:7]
/*  mfmaIndex:58  */
	;; [unrolled: 2-line block ×3, first 2 shown]
/* sched write - iter 1 writesPerItem=1 */
s_waitcnt vmcnt(0)                                 // lgkmcnt=-1 vmcnt=0wait for global read before writing to local
_ds_store_b32 v[vgprLocalWriteAddrA], v[vgprG2LA+3] offset:3096 // lwoA_0_0_3_0 = (0*LSCA)*(MT0I+PAD) + (3*LSPA) = 3096
v_mfma_f32_16x16x32_bf8_bf8 a[12+0:15+0], v[vgprValuB_X1_I0+0+0+0:vgprValuB_X1_I0+0+0+0+1], v[vgprValuA_X1_I0+6+0+0:vgprValuA_X1_I0+6+0+0+1], a[12:15]
/*  mfmaIndex:60  */
v_mfma_f32_16x16x32_bf8_bf8 a[16+0:19+0], v[vgprValuB_X1_I0+0+0+0:vgprValuB_X1_I0+0+0+0+1], v[vgprValuA_X1_I0+8+0+0:vgprValuA_X1_I0+8+0+0+1], a[16:19]
/*  mfmaIndex:61  */
/* sched write - iter 1 writesPerItem=1 */
s_waitcnt vmcnt(0)                                 // lgkmcnt=-1 vmcnt=0wait for global read before writing to local
_ds_store_b32 v[vgprLocalWriteAddrA], v[vgprG2LA+4] offset:4128 // lwoA_0_0_4_0 = (0*LSCA)*(MT0I+PAD) + (4*LSPA) = 4128
v_mfma_f32_16x16x32_bf8_bf8 a[20+0:23+0], v[vgprValuB_X1_I0+0+0+0:vgprValuB_X1_I0+0+0+0+1], v[vgprValuA_X1_I0+10+0+0:vgprValuA_X1_I0+10+0+0+1], a[20:23]
/*  mfmaIndex:62  */
v_mfma_f32_16x16x32_bf8_bf8 a[24+0:27+0], v[vgprValuB_X1_I0+0+0+0:vgprValuB_X1_I0+0+0+0+1], v[vgprValuA_X1_I0+12+0+0:vgprValuA_X1_I0+12+0+0+1], a[24:27]
/*  mfmaIndex:63  */
	;; [unrolled: 2-line block ×3, first 2 shown]
/* sched write - iter 1 writesPerItem=1 */
s_waitcnt vmcnt(0)                                 // lgkmcnt=-1 vmcnt=0wait for global read before writing to local
_ds_store_b32 v[vgprLocalWriteAddrA], v[vgprG2LA+5] offset:5160 // lwoA_0_0_5_0 = (0*LSCA)*(MT0I+PAD) + (5*LSPA) = 5160
v_mfma_f32_16x16x32_bf8_bf8 a[60+0:63+0], v[vgprValuB_X1_I0+2+0+0:vgprValuB_X1_I0+2+0+0+1], v[vgprValuA_X1_I0+14+0+0:vgprValuA_X1_I0+14+0+0+1], a[60:63]
/*  mfmaIndex:65  */
v_mfma_f32_16x16x32_bf8_bf8 a[56+0:59+0], v[vgprValuB_X1_I0+2+0+0:vgprValuB_X1_I0+2+0+0+1], v[vgprValuA_X1_I0+12+0+0:vgprValuA_X1_I0+12+0+0+1], a[56:59]
/*  mfmaIndex:66  */
/* sched write - iter 1 writesPerItem=1 */
s_waitcnt vmcnt(0)                                 // lgkmcnt=-1 vmcnt=0wait for global read before writing to local
_ds_store_b32 v[vgprLocalWriteAddrA], v[vgprG2LA+6] offset:6192 // lwoA_0_0_6_0 = (0*LSCA)*(MT0I+PAD) + (6*LSPA) = 6192
v_mfma_f32_16x16x32_bf8_bf8 a[52+0:55+0], v[vgprValuB_X1_I0+2+0+0:vgprValuB_X1_I0+2+0+0+1], v[vgprValuA_X1_I0+10+0+0:vgprValuA_X1_I0+10+0+0+1], a[52:55]
/*  mfmaIndex:67  */
v_mfma_f32_16x16x32_bf8_bf8 a[48+0:51+0], v[vgprValuB_X1_I0+2+0+0:vgprValuB_X1_I0+2+0+0+1], v[vgprValuA_X1_I0+8+0+0:vgprValuA_X1_I0+8+0+0+1], a[48:51]
/*  mfmaIndex:68  */
	;; [unrolled: 2-line block ×3, first 2 shown]
/* sched write - iter 1 writesPerItem=1 */
s_waitcnt vmcnt(0)                                 // lgkmcnt=-1 vmcnt=0wait for global read before writing to local
_ds_store_b32 v[vgprLocalWriteAddrA], v[vgprG2LA+7] offset:7224 // lwoA_0_0_7_0 = (0*LSCA)*(MT0I+PAD) + (7*LSPA) = 7224
v_mfma_f32_16x16x32_bf8_bf8 a[40+0:43+0], v[vgprValuB_X1_I0+2+0+0:vgprValuB_X1_I0+2+0+0+1], v[vgprValuA_X1_I0+4+0+0:vgprValuA_X1_I0+4+0+0+1], a[40:43]
/*  mfmaIndex:70  */
v_mfma_f32_16x16x32_bf8_bf8 a[36+0:39+0], v[vgprValuB_X1_I0+2+0+0:vgprValuB_X1_I0+2+0+0+1], v[vgprValuA_X1_I0+2+0+0:vgprValuA_X1_I0+2+0+0+1], a[36:39]
/*  mfmaIndex:71  */
/* sched write - iter 1 writesPerItem=1 */
s_waitcnt vmcnt(0)                                 // lgkmcnt=-1 vmcnt=0wait for global read before writing to local
_ds_store_b32 v[vgprLocalWriteAddrA], v[vgprG2LA+8] offset:8256 // lwoA_0_0_8_0 = (0*LSCA)*(MT0I+PAD) + (8*LSPA) = 8256
v_mfma_f32_16x16x32_bf8_bf8 a[32+0:35+0], v[vgprValuB_X1_I0+2+0+0:vgprValuB_X1_I0+2+0+0+1], v[vgprValuA_X1_I0+0+0+0:vgprValuA_X1_I0+0+0+0+1], a[32:35]
/*  mfmaIndex:72  */
v_mfma_f32_16x16x32_bf8_bf8 a[64+0:67+0], v[vgprValuB_X1_I0+4+0+0:vgprValuB_X1_I0+4+0+0+1], v[vgprValuA_X1_I0+0+0+0:vgprValuA_X1_I0+0+0+0+1], a[64:67]
/*  mfmaIndex:73  */
	;; [unrolled: 2-line block ×3, first 2 shown]
/* sched write - iter 1 writesPerItem=1 */
s_waitcnt vmcnt(0)                                 // lgkmcnt=-1 vmcnt=0wait for global read before writing to local
_ds_store_b32 v[vgprLocalWriteAddrA], v[vgprG2LA+9] offset:9288 // lwoA_0_0_9_0 = (0*LSCA)*(MT0I+PAD) + (9*LSPA) = 9288
v_mfma_f32_16x16x32_bf8_bf8 a[72+0:75+0], v[vgprValuB_X1_I0+4+0+0:vgprValuB_X1_I0+4+0+0+1], v[vgprValuA_X1_I0+4+0+0:vgprValuA_X1_I0+4+0+0+1], a[72:75]
/*  mfmaIndex:75  */
v_mfma_f32_16x16x32_bf8_bf8 a[76+0:79+0], v[vgprValuB_X1_I0+4+0+0:vgprValuB_X1_I0+4+0+0+1], v[vgprValuA_X1_I0+6+0+0:vgprValuA_X1_I0+6+0+0+1], a[76:79]
/*  mfmaIndex:76  */
/* sched write - iter 1 writesPerItem=1 */
s_waitcnt vmcnt(0)                                 // lgkmcnt=-1 vmcnt=0wait for global read before writing to local
_ds_store_b32 v[vgprLocalWriteAddrA], v[vgprG2LA+10] offset:10320 // lwoA_0_0_10_0 = (0*LSCA)*(MT0I+PAD) + (10*LSPA) = 10320
v_mfma_f32_16x16x32_bf8_bf8 a[80+0:83+0], v[vgprValuB_X1_I0+4+0+0:vgprValuB_X1_I0+4+0+0+1], v[vgprValuA_X1_I0+8+0+0:vgprValuA_X1_I0+8+0+0+1], a[80:83]
/*  mfmaIndex:77  */
v_mfma_f32_16x16x32_bf8_bf8 a[84+0:87+0], v[vgprValuB_X1_I0+4+0+0:vgprValuB_X1_I0+4+0+0+1], v[vgprValuA_X1_I0+10+0+0:vgprValuA_X1_I0+10+0+0+1], a[84:87]
/*  mfmaIndex:78  */
	;; [unrolled: 2-line block ×3, first 2 shown]
/* sched write - iter 1 writesPerItem=1 */
s_waitcnt vmcnt(0)                                 // lgkmcnt=-1 vmcnt=0wait for global read before writing to local
_ds_store_b32 v[vgprLocalWriteAddrA], v[vgprG2LA+11] offset:11352 // lwoA_0_0_11_0 = (0*LSCA)*(MT0I+PAD) + (11*LSPA) = 11352
v_mfma_f32_16x16x32_bf8_bf8 a[92+0:95+0], v[vgprValuB_X1_I0+4+0+0:vgprValuB_X1_I0+4+0+0+1], v[vgprValuA_X1_I0+14+0+0:vgprValuA_X1_I0+14+0+0+1], a[92:95]
/*  mfmaIndex:80  */
v_mfma_f32_16x16x32_bf8_bf8 a[124+0:127+0], v[vgprValuB_X1_I0+6+0+0:vgprValuB_X1_I0+6+0+0+1], v[vgprValuA_X1_I0+14+0+0:vgprValuA_X1_I0+14+0+0+1], a[124:127]
/*  mfmaIndex:81  */
/* sched write - iter 1 writesPerItem=1 */
s_waitcnt vmcnt(0)                                 // lgkmcnt=-1 vmcnt=0wait for global read before writing to local
_ds_store_b32 v[vgprLocalWriteAddrA], v[vgprG2LA+12] offset:12384 // lwoA_0_0_12_0 = (0*LSCA)*(MT0I+PAD) + (12*LSPA) = 12384
v_mfma_f32_16x16x32_bf8_bf8 a[120+0:123+0], v[vgprValuB_X1_I0+6+0+0:vgprValuB_X1_I0+6+0+0+1], v[vgprValuA_X1_I0+12+0+0:vgprValuA_X1_I0+12+0+0+1], a[120:123]
/*  mfmaIndex:82  */
v_mfma_f32_16x16x32_bf8_bf8 a[116+0:119+0], v[vgprValuB_X1_I0+6+0+0:vgprValuB_X1_I0+6+0+0+1], v[vgprValuA_X1_I0+10+0+0:vgprValuA_X1_I0+10+0+0+1], a[116:119]
/*  mfmaIndex:83  */
	;; [unrolled: 2-line block ×3, first 2 shown]
/* sched write - iter 1 writesPerItem=1 */
s_waitcnt vmcnt(0)                                 // lgkmcnt=-1 vmcnt=0wait for global read before writing to local
_ds_store_b32 v[vgprLocalWriteAddrA], v[vgprG2LA+13] offset:13416 // lwoA_0_0_13_0 = (0*LSCA)*(MT0I+PAD) + (13*LSPA) = 13416
v_mfma_f32_16x16x32_bf8_bf8 a[108+0:111+0], v[vgprValuB_X1_I0+6+0+0:vgprValuB_X1_I0+6+0+0+1], v[vgprValuA_X1_I0+6+0+0:vgprValuA_X1_I0+6+0+0+1], a[108:111]
/*  mfmaIndex:85  */
v_mfma_f32_16x16x32_bf8_bf8 a[104+0:107+0], v[vgprValuB_X1_I0+6+0+0:vgprValuB_X1_I0+6+0+0+1], v[vgprValuA_X1_I0+4+0+0:vgprValuA_X1_I0+4+0+0+1], a[104:107]
/*  mfmaIndex:86  */
/* sched write - iter 1 writesPerItem=1 */
s_waitcnt vmcnt(0)                                 // lgkmcnt=-1 vmcnt=0wait for global read before writing to local
_ds_store_b32 v[vgprLocalWriteAddrA], v[vgprG2LA+14] offset:14448 // lwoA_0_0_14_0 = (0*LSCA)*(MT0I+PAD) + (14*LSPA) = 14448
v_mfma_f32_16x16x32_bf8_bf8 a[100+0:103+0], v[vgprValuB_X1_I0+6+0+0:vgprValuB_X1_I0+6+0+0+1], v[vgprValuA_X1_I0+2+0+0:vgprValuA_X1_I0+2+0+0+1], a[100:103]
/*  mfmaIndex:87  */
v_mfma_f32_16x16x32_bf8_bf8 a[96+0:99+0], v[vgprValuB_X1_I0+6+0+0:vgprValuB_X1_I0+6+0+0+1], v[vgprValuA_X1_I0+0+0+0:vgprValuA_X1_I0+0+0+0+1], a[96:99]
/*  mfmaIndex:88  */
	;; [unrolled: 2-line block ×3, first 2 shown]
/* sched write - iter 1 writesPerItem=1 */
s_waitcnt vmcnt(0)                                 // lgkmcnt=-1 vmcnt=0wait for global read before writing to local
_ds_store_b32 v[vgprLocalWriteAddrA], v[vgprG2LA+15] offset:15480 // lwoA_0_0_15_0 = (0*LSCA)*(MT0I+PAD) + (15*LSPA) = 15480
v_mfma_f32_16x16x32_bf8_bf8 a[132+0:135+0], v[vgprValuB_X1_I0+8+0+0:vgprValuB_X1_I0+8+0+0+1], v[vgprValuA_X1_I0+2+0+0:vgprValuA_X1_I0+2+0+0+1], a[132:135]
/*  mfmaIndex:90  */
v_mfma_f32_16x16x32_bf8_bf8 a[136+0:139+0], v[vgprValuB_X1_I0+8+0+0:vgprValuB_X1_I0+8+0+0+1], v[vgprValuA_X1_I0+4+0+0:vgprValuA_X1_I0+4+0+0+1], a[136:139]
/*  mfmaIndex:91  */
/* sched write - iter 1 writesPerItem=1 */
s_waitcnt vmcnt(0)                                 // lgkmcnt=-1 vmcnt=0wait for global read before writing to local
_ds_store_b32 v[vgprLocalWriteAddrA], v[vgprG2LA+16] offset:16512 // lwoA_0_0_16_0 = (0*LSCA)*(MT0I+PAD) + (16*LSPA) = 16512
v_mfma_f32_16x16x32_bf8_bf8 a[140+0:143+0], v[vgprValuB_X1_I0+8+0+0:vgprValuB_X1_I0+8+0+0+1], v[vgprValuA_X1_I0+6+0+0:vgprValuA_X1_I0+6+0+0+1], a[140:143]
/*  mfmaIndex:92  */
v_mfma_f32_16x16x32_bf8_bf8 a[144+0:147+0], v[vgprValuB_X1_I0+8+0+0:vgprValuB_X1_I0+8+0+0+1], v[vgprValuA_X1_I0+8+0+0:vgprValuA_X1_I0+8+0+0+1], a[144:147]
/*  mfmaIndex:93  */
/* sched write - iter 1 writesPerItem=1 */
s_waitcnt vmcnt(0)                                 // lgkmcnt=-1 vmcnt=0wait for global read before writing to local
_ds_store_b32 v[vgprLocalWriteAddrA], v[vgprG2LA+17] offset:17544 // lwoA_0_0_17_0 = (0*LSCA)*(MT0I+PAD) + (17*LSPA) = 17544
v_mfma_f32_16x16x32_bf8_bf8 a[148+0:151+0], v[vgprValuB_X1_I0+8+0+0:vgprValuB_X1_I0+8+0+0+1], v[vgprValuA_X1_I0+10+0+0:vgprValuA_X1_I0+10+0+0+1], a[148:151]
/*  mfmaIndex:94  */
v_mfma_f32_16x16x32_bf8_bf8 a[152+0:155+0], v[vgprValuB_X1_I0+8+0+0:vgprValuB_X1_I0+8+0+0+1], v[vgprValuA_X1_I0+12+0+0:vgprValuA_X1_I0+12+0+0+1], a[152:155]
/*  mfmaIndex:95  */
	;; [unrolled: 2-line block ×3, first 2 shown]
/* sched write - iter 1 writesPerItem=1 */
s_waitcnt vmcnt(0)                                 // lgkmcnt=-1 vmcnt=0wait for global read before writing to local
_ds_store_b32 v[vgprLocalWriteAddrA], v[vgprG2LA+18] offset:18576 // lwoA_0_0_18_0 = (0*LSCA)*(MT0I+PAD) + (18*LSPA) = 18576
v_mfma_f32_16x16x32_bf8_bf8 a[188+0:191+0], v[vgprValuB_X1_I0+10+0+0:vgprValuB_X1_I0+10+0+0+1], v[vgprValuA_X1_I0+14+0+0:vgprValuA_X1_I0+14+0+0+1], a[188:191]
/*  mfmaIndex:97  */
v_mfma_f32_16x16x32_bf8_bf8 a[184+0:187+0], v[vgprValuB_X1_I0+10+0+0:vgprValuB_X1_I0+10+0+0+1], v[vgprValuA_X1_I0+12+0+0:vgprValuA_X1_I0+12+0+0+1], a[184:187]
/*  mfmaIndex:98  */
/* sched write - iter 1 writesPerItem=1 */
s_waitcnt vmcnt(0)                                 // lgkmcnt=-1 vmcnt=0wait for global read before writing to local
_ds_store_b32 v[vgprLocalWriteAddrA], v[vgprG2LA+19] offset:19608 // lwoA_0_0_19_0 = (0*LSCA)*(MT0I+PAD) + (19*LSPA) = 19608
v_mfma_f32_16x16x32_bf8_bf8 a[180+0:183+0], v[vgprValuB_X1_I0+10+0+0:vgprValuB_X1_I0+10+0+0+1], v[vgprValuA_X1_I0+10+0+0:vgprValuA_X1_I0+10+0+0+1], a[180:183]
/*  mfmaIndex:99  */
v_mfma_f32_16x16x32_bf8_bf8 a[176+0:179+0], v[vgprValuB_X1_I0+10+0+0:vgprValuB_X1_I0+10+0+0+1], v[vgprValuA_X1_I0+8+0+0:vgprValuA_X1_I0+8+0+0+1], a[176:179]
/*  mfmaIndex:100  */
	;; [unrolled: 2-line block ×3, first 2 shown]
/* sched write - iter 1 writesPerItem=1 */
s_waitcnt vmcnt(0)                                 // lgkmcnt=-1 vmcnt=0wait for global read before writing to local
_ds_store_b32 v[vgprLocalWriteAddrA], v[vgprG2LA+20] offset:20640 // lwoA_0_0_20_0 = (0*LSCA)*(MT0I+PAD) + (20*LSPA) = 20640
v_mfma_f32_16x16x32_bf8_bf8 a[168+0:171+0], v[vgprValuB_X1_I0+10+0+0:vgprValuB_X1_I0+10+0+0+1], v[vgprValuA_X1_I0+4+0+0:vgprValuA_X1_I0+4+0+0+1], a[168:171]
/*  mfmaIndex:102  */
v_mfma_f32_16x16x32_bf8_bf8 a[164+0:167+0], v[vgprValuB_X1_I0+10+0+0:vgprValuB_X1_I0+10+0+0+1], v[vgprValuA_X1_I0+2+0+0:vgprValuA_X1_I0+2+0+0+1], a[164:167]
/*  mfmaIndex:103  */
/* sched write - iter 1 writesPerItem=1 */
s_waitcnt vmcnt(0)                                 // lgkmcnt=-1 vmcnt=0wait for global read before writing to local
_ds_store_b32 v[vgprLocalWriteAddrA], v[vgprG2LA+21] offset:21672 // lwoA_0_0_21_0 = (0*LSCA)*(MT0I+PAD) + (21*LSPA) = 21672
v_mfma_f32_16x16x32_bf8_bf8 a[160+0:163+0], v[vgprValuB_X1_I0+10+0+0:vgprValuB_X1_I0+10+0+0+1], v[vgprValuA_X1_I0+0+0+0:vgprValuA_X1_I0+0+0+0+1], a[160:163]
/*  mfmaIndex:104  */
v_mfma_f32_16x16x32_bf8_bf8 a[192+0:195+0], v[vgprValuB_X1_I0+12+0+0:vgprValuB_X1_I0+12+0+0+1], v[vgprValuA_X1_I0+0+0+0:vgprValuA_X1_I0+0+0+0+1], a[192:195]
/*  mfmaIndex:105  */
	;; [unrolled: 2-line block ×3, first 2 shown]
/* sched write - iter 1 writesPerItem=1 */
s_waitcnt vmcnt(0)                                 // lgkmcnt=-1 vmcnt=0wait for global read before writing to local
_ds_store_b32 v[vgprLocalWriteAddrA], v[vgprG2LA+22] offset:22704 // lwoA_0_0_22_0 = (0*LSCA)*(MT0I+PAD) + (22*LSPA) = 22704
v_mfma_f32_16x16x32_bf8_bf8 a[200+0:203+0], v[vgprValuB_X1_I0+12+0+0:vgprValuB_X1_I0+12+0+0+1], v[vgprValuA_X1_I0+4+0+0:vgprValuA_X1_I0+4+0+0+1], a[200:203]
/*  mfmaIndex:107  */
v_mfma_f32_16x16x32_bf8_bf8 a[204+0:207+0], v[vgprValuB_X1_I0+12+0+0:vgprValuB_X1_I0+12+0+0+1], v[vgprValuA_X1_I0+6+0+0:vgprValuA_X1_I0+6+0+0+1], a[204:207]
/*  mfmaIndex:108  */
/* sched write - iter 1 writesPerItem=1 */
s_waitcnt vmcnt(0)                                 // lgkmcnt=-1 vmcnt=0wait for global read before writing to local
_ds_store_b32 v[vgprLocalWriteAddrA], v[vgprG2LA+23] offset:23736 // lwoA_0_0_23_0 = (0*LSCA)*(MT0I+PAD) + (23*LSPA) = 23736
v_mfma_f32_16x16x32_bf8_bf8 a[208+0:211+0], v[vgprValuB_X1_I0+12+0+0:vgprValuB_X1_I0+12+0+0+1], v[vgprValuA_X1_I0+8+0+0:vgprValuA_X1_I0+8+0+0+1], a[208:211]
/*  mfmaIndex:109  */
v_mfma_f32_16x16x32_bf8_bf8 a[212+0:215+0], v[vgprValuB_X1_I0+12+0+0:vgprValuB_X1_I0+12+0+0+1], v[vgprValuA_X1_I0+10+0+0:vgprValuA_X1_I0+10+0+0+1], a[212:215]
/*  mfmaIndex:110  */
	;; [unrolled: 2-line block ×3, first 2 shown]
/* sched write - iter 1 writesPerItem=1 */
s_waitcnt vmcnt(0)                                 // lgkmcnt=-1 vmcnt=0wait for global read before writing to local
_ds_store_b32 v[vgprLocalWriteAddrA], v[vgprG2LA+24] offset:24768 // lwoA_0_0_24_0 = (0*LSCA)*(MT0I+PAD) + (24*LSPA) = 24768
v_mfma_f32_16x16x32_bf8_bf8 a[220+0:223+0], v[vgprValuB_X1_I0+12+0+0:vgprValuB_X1_I0+12+0+0+1], v[vgprValuA_X1_I0+14+0+0:vgprValuA_X1_I0+14+0+0+1], a[220:223]


/* iter 2 (reset local read pointers iteration)  (swap local read pointers iteration)  */

/*  grEndMfmaIndex:18, lwStartMfmaIndex:52, lwEndMfmaIndex:198  */
/*  numMfmaForLR:20, barrierMfmaIndex:203, LocalWritePerMfma:0.405 */
/*  mfmaIndex:112  */
v_mfma_f32_16x16x32_bf8_bf8 a[0+0:3+0], v[vgprValuB_X2_I0+0+0+0:vgprValuB_X2_I0+0+0+0+1], v[vgprValuA_X2_I0+0+0+0:vgprValuA_X2_I0+0+0+0+1], a[0:3]
/*  mfmaIndex:113  */
/* sched write - iter 2 writesPerItem=1 */
s_waitcnt vmcnt(0)                                 // lgkmcnt=-1 vmcnt=0wait for global read before writing to local
_ds_store_b32 v[vgprLocalWriteAddrA], v[vgprG2LA+25] offset:25800 // lwoA_0_0_25_0 = (0*LSCA)*(MT0I+PAD) + (25*LSPA) = 25800
v_mfma_f32_16x16x32_bf8_bf8 a[4+0:7+0], v[vgprValuB_X2_I0+0+0+0:vgprValuB_X2_I0+0+0+0+1], v[vgprValuA_X2_I0+2+0+0:vgprValuA_X2_I0+2+0+0+1], a[4:7]
/*  mfmaIndex:114  */
v_mfma_f32_16x16x32_bf8_bf8 a[8+0:11+0], v[vgprValuB_X2_I0+0+0+0:vgprValuB_X2_I0+0+0+0+1], v[vgprValuA_X2_I0+4+0+0:vgprValuA_X2_I0+4+0+0+1], a[8:11]
/*  mfmaIndex:115  */
	;; [unrolled: 2-line block ×3, first 2 shown]
/* sched write - iter 2 writesPerItem=1 */
s_waitcnt vmcnt(0)                                 // lgkmcnt=-1 vmcnt=0wait for global read before writing to local
_ds_store_b32 v[vgprLocalWriteAddrA], v[vgprG2LA+26] offset:26832 // lwoA_0_0_26_0 = (0*LSCA)*(MT0I+PAD) + (26*LSPA) = 26832
v_mfma_f32_16x16x32_bf8_bf8 a[16+0:19+0], v[vgprValuB_X2_I0+0+0+0:vgprValuB_X2_I0+0+0+0+1], v[vgprValuA_X2_I0+8+0+0:vgprValuA_X2_I0+8+0+0+1], a[16:19]
/*  mfmaIndex:117  */
v_mfma_f32_16x16x32_bf8_bf8 a[20+0:23+0], v[vgprValuB_X2_I0+0+0+0:vgprValuB_X2_I0+0+0+0+1], v[vgprValuA_X2_I0+10+0+0:vgprValuA_X2_I0+10+0+0+1], a[20:23]
/*  mfmaIndex:118  */
/* sched write - iter 2 writesPerItem=1 */
s_waitcnt vmcnt(0)                                 // lgkmcnt=-1 vmcnt=0wait for global read before writing to local
_ds_store_b32 v[vgprLocalWriteAddrA], v[vgprG2LA+27] offset:27864 // lwoA_0_0_27_0 = (0*LSCA)*(MT0I+PAD) + (27*LSPA) = 27864
v_mfma_f32_16x16x32_bf8_bf8 a[24+0:27+0], v[vgprValuB_X2_I0+0+0+0:vgprValuB_X2_I0+0+0+0+1], v[vgprValuA_X2_I0+12+0+0:vgprValuA_X2_I0+12+0+0+1], a[24:27]
/*  mfmaIndex:119  */
v_mfma_f32_16x16x32_bf8_bf8 a[28+0:31+0], v[vgprValuB_X2_I0+0+0+0:vgprValuB_X2_I0+0+0+0+1], v[vgprValuA_X2_I0+14+0+0:vgprValuA_X2_I0+14+0+0+1], a[28:31]
/*  mfmaIndex:120  */
	;; [unrolled: 2-line block ×3, first 2 shown]
/* sched write - iter 2 writesPerItem=1 */
s_waitcnt vmcnt(0)                                 // lgkmcnt=-1 vmcnt=0wait for global read before writing to local
_ds_store_b32 v[vgprLocalWriteAddrA], v[vgprG2LA+28] offset:28896 // lwoA_0_0_28_0 = (0*LSCA)*(MT0I+PAD) + (28*LSPA) = 28896
v_mfma_f32_16x16x32_bf8_bf8 a[56+0:59+0], v[vgprValuB_X2_I0+2+0+0:vgprValuB_X2_I0+2+0+0+1], v[vgprValuA_X2_I0+12+0+0:vgprValuA_X2_I0+12+0+0+1], a[56:59]
/*  mfmaIndex:122  */
v_mfma_f32_16x16x32_bf8_bf8 a[52+0:55+0], v[vgprValuB_X2_I0+2+0+0:vgprValuB_X2_I0+2+0+0+1], v[vgprValuA_X2_I0+10+0+0:vgprValuA_X2_I0+10+0+0+1], a[52:55]
/*  mfmaIndex:123  */
/* sched write - iter 2 writesPerItem=1 */
s_waitcnt vmcnt(0)                                 // lgkmcnt=-1 vmcnt=0wait for global read before writing to local
_ds_store_b32 v[vgprLocalWriteAddrA], v[vgprG2LA+29] offset:29928 // lwoA_0_0_29_0 = (0*LSCA)*(MT0I+PAD) + (29*LSPA) = 29928
v_mfma_f32_16x16x32_bf8_bf8 a[48+0:51+0], v[vgprValuB_X2_I0+2+0+0:vgprValuB_X2_I0+2+0+0+1], v[vgprValuA_X2_I0+8+0+0:vgprValuA_X2_I0+8+0+0+1], a[48:51]
/*  mfmaIndex:124  */
v_mfma_f32_16x16x32_bf8_bf8 a[44+0:47+0], v[vgprValuB_X2_I0+2+0+0:vgprValuB_X2_I0+2+0+0+1], v[vgprValuA_X2_I0+6+0+0:vgprValuA_X2_I0+6+0+0+1], a[44:47]
/*  mfmaIndex:125  */
	;; [unrolled: 2-line block ×3, first 2 shown]
/* sched write - iter 2 writesPerItem=1 */
s_waitcnt vmcnt(0)                                 // lgkmcnt=-1 vmcnt=0wait for global read before writing to local
_ds_store_b32 v[vgprLocalWriteAddrA], v[vgprG2LA+30] offset:30960 // lwoA_0_0_30_0 = (0*LSCA)*(MT0I+PAD) + (30*LSPA) = 30960
v_mfma_f32_16x16x32_bf8_bf8 a[36+0:39+0], v[vgprValuB_X2_I0+2+0+0:vgprValuB_X2_I0+2+0+0+1], v[vgprValuA_X2_I0+2+0+0:vgprValuA_X2_I0+2+0+0+1], a[36:39]
/*  mfmaIndex:127  */
v_mfma_f32_16x16x32_bf8_bf8 a[32+0:35+0], v[vgprValuB_X2_I0+2+0+0:vgprValuB_X2_I0+2+0+0+1], v[vgprValuA_X2_I0+0+0+0:vgprValuA_X2_I0+0+0+0+1], a[32:35]
/*  mfmaIndex:128  */
/* sched write - iter 2 writesPerItem=1 */
s_waitcnt vmcnt(0)                                 // lgkmcnt=-1 vmcnt=0wait for global read before writing to local
_ds_store_b32 v[vgprLocalWriteAddrA], v[vgprG2LA+31] offset:31992 // lwoA_0_0_31_0 = (0*LSCA)*(MT0I+PAD) + (31*LSPA) = 31992
v_mfma_f32_16x16x32_bf8_bf8 a[64+0:67+0], v[vgprValuB_X2_I0+4+0+0:vgprValuB_X2_I0+4+0+0+1], v[vgprValuA_X2_I0+0+0+0:vgprValuA_X2_I0+0+0+0+1], a[64:67]
/*  mfmaIndex:129  */
v_mfma_f32_16x16x32_bf8_bf8 a[68+0:71+0], v[vgprValuB_X2_I0+4+0+0:vgprValuB_X2_I0+4+0+0+1], v[vgprValuA_X2_I0+2+0+0:vgprValuA_X2_I0+2+0+0+1], a[68:71]
/*  mfmaIndex:130  */
	;; [unrolled: 2-line block ×3, first 2 shown]
/* sched write - iter 2 writesPerItem=1 */
s_waitcnt vmcnt(0)                                 // lgkmcnt=-1 vmcnt=0wait for global read before writing to local
_ds_store_b32 v[vgprLocalWriteAddrB], v[vgprG2LB+0] offset:0 // lwoB_0_0_0_0 = (0*LSCB)*(MT1J+PAD) + (0*LSPB) = 0
v_mfma_f32_16x16x32_bf8_bf8 a[76+0:79+0], v[vgprValuB_X2_I0+4+0+0:vgprValuB_X2_I0+4+0+0+1], v[vgprValuA_X2_I0+6+0+0:vgprValuA_X2_I0+6+0+0+1], a[76:79]
/*  mfmaIndex:132  */
v_mfma_f32_16x16x32_bf8_bf8 a[80+0:83+0], v[vgprValuB_X2_I0+4+0+0:vgprValuB_X2_I0+4+0+0+1], v[vgprValuA_X2_I0+8+0+0:vgprValuA_X2_I0+8+0+0+1], a[80:83]
/*  mfmaIndex:133  */
/* sched write - iter 2 writesPerItem=1 */
s_waitcnt vmcnt(0)                                 // lgkmcnt=-1 vmcnt=0wait for global read before writing to local
_ds_store_b32 v[vgprLocalWriteAddrB], v[vgprG2LB+1] offset:1088 // lwoB_0_0_1_0 = (0*LSCB)*(MT1J+PAD) + (1*LSPB) = 1088
v_mfma_f32_16x16x32_bf8_bf8 a[84+0:87+0], v[vgprValuB_X2_I0+4+0+0:vgprValuB_X2_I0+4+0+0+1], v[vgprValuA_X2_I0+10+0+0:vgprValuA_X2_I0+10+0+0+1], a[84:87]
/*  mfmaIndex:134  */
v_mfma_f32_16x16x32_bf8_bf8 a[88+0:91+0], v[vgprValuB_X2_I0+4+0+0:vgprValuB_X2_I0+4+0+0+1], v[vgprValuA_X2_I0+12+0+0:vgprValuA_X2_I0+12+0+0+1], a[88:91]
/*  mfmaIndex:135  */
/* sched write - iter 2 writesPerItem=1 */
s_waitcnt vmcnt(0)                                 // lgkmcnt=-1 vmcnt=0wait for global read before writing to local
_ds_store_b32 v[vgprLocalWriteAddrB], v[vgprG2LB+2] offset:2176 // lwoB_0_0_2_0 = (0*LSCB)*(MT1J+PAD) + (2*LSPB) = 2176
v_mfma_f32_16x16x32_bf8_bf8 a[92+0:95+0], v[vgprValuB_X2_I0+4+0+0:vgprValuB_X2_I0+4+0+0+1], v[vgprValuA_X2_I0+14+0+0:vgprValuA_X2_I0+14+0+0+1], a[92:95]
/*  mfmaIndex:136  */
v_mfma_f32_16x16x32_bf8_bf8 a[124+0:127+0], v[vgprValuB_X2_I0+6+0+0:vgprValuB_X2_I0+6+0+0+1], v[vgprValuA_X2_I0+14+0+0:vgprValuA_X2_I0+14+0+0+1], a[124:127]
/*  mfmaIndex:137  */
v_mfma_f32_16x16x32_bf8_bf8 a[120+0:123+0], v[vgprValuB_X2_I0+6+0+0:vgprValuB_X2_I0+6+0+0+1], v[vgprValuA_X2_I0+12+0+0:vgprValuA_X2_I0+12+0+0+1], a[120:123]
/*  mfmaIndex:138  */
/* sched write - iter 2 writesPerItem=1 */
s_waitcnt vmcnt(0)                                 // lgkmcnt=-1 vmcnt=0wait for global read before writing to local
_ds_store_b32 v[vgprLocalWriteAddrB], v[vgprG2LB+3] offset:3264 // lwoB_0_0_3_0 = (0*LSCB)*(MT1J+PAD) + (3*LSPB) = 3264
v_mfma_f32_16x16x32_bf8_bf8 a[116+0:119+0], v[vgprValuB_X2_I0+6+0+0:vgprValuB_X2_I0+6+0+0+1], v[vgprValuA_X2_I0+10+0+0:vgprValuA_X2_I0+10+0+0+1], a[116:119]
/*  mfmaIndex:139  */
v_mfma_f32_16x16x32_bf8_bf8 a[112+0:115+0], v[vgprValuB_X2_I0+6+0+0:vgprValuB_X2_I0+6+0+0+1], v[vgprValuA_X2_I0+8+0+0:vgprValuA_X2_I0+8+0+0+1], a[112:115]
/*  mfmaIndex:140  */
/* sched write - iter 2 writesPerItem=1 */
s_waitcnt vmcnt(0)                                 // lgkmcnt=-1 vmcnt=0wait for global read before writing to local
_ds_store_b32 v[vgprLocalWriteAddrB], v[vgprG2LB+4] offset:4352 // lwoB_0_0_4_0 = (0*LSCB)*(MT1J+PAD) + (4*LSPB) = 4352
v_mfma_f32_16x16x32_bf8_bf8 a[108+0:111+0], v[vgprValuB_X2_I0+6+0+0:vgprValuB_X2_I0+6+0+0+1], v[vgprValuA_X2_I0+6+0+0:vgprValuA_X2_I0+6+0+0+1], a[108:111]
/*  mfmaIndex:141  */
v_mfma_f32_16x16x32_bf8_bf8 a[104+0:107+0], v[vgprValuB_X2_I0+6+0+0:vgprValuB_X2_I0+6+0+0+1], v[vgprValuA_X2_I0+4+0+0:vgprValuA_X2_I0+4+0+0+1], a[104:107]
/*  mfmaIndex:142  */
	;; [unrolled: 2-line block ×3, first 2 shown]
/* sched write - iter 2 writesPerItem=1 */
s_waitcnt vmcnt(0)                                 // lgkmcnt=-1 vmcnt=0wait for global read before writing to local
_ds_store_b32 v[vgprLocalWriteAddrB], v[vgprG2LB+5] offset:5440 // lwoB_0_0_5_0 = (0*LSCB)*(MT1J+PAD) + (5*LSPB) = 5440
v_mfma_f32_16x16x32_bf8_bf8 a[96+0:99+0], v[vgprValuB_X2_I0+6+0+0:vgprValuB_X2_I0+6+0+0+1], v[vgprValuA_X2_I0+0+0+0:vgprValuA_X2_I0+0+0+0+1], a[96:99]
/*  mfmaIndex:144  */
v_mfma_f32_16x16x32_bf8_bf8 a[128+0:131+0], v[vgprValuB_X2_I0+8+0+0:vgprValuB_X2_I0+8+0+0+1], v[vgprValuA_X2_I0+0+0+0:vgprValuA_X2_I0+0+0+0+1], a[128:131]
/*  mfmaIndex:145  */
/* sched write - iter 2 writesPerItem=1 */
s_waitcnt vmcnt(0)                                 // lgkmcnt=-1 vmcnt=0wait for global read before writing to local
_ds_store_b32 v[vgprLocalWriteAddrB], v[vgprG2LB+6] offset:6528 // lwoB_0_0_6_0 = (0*LSCB)*(MT1J+PAD) + (6*LSPB) = 6528
v_mfma_f32_16x16x32_bf8_bf8 a[132+0:135+0], v[vgprValuB_X2_I0+8+0+0:vgprValuB_X2_I0+8+0+0+1], v[vgprValuA_X2_I0+2+0+0:vgprValuA_X2_I0+2+0+0+1], a[132:135]
/*  mfmaIndex:146  */
v_mfma_f32_16x16x32_bf8_bf8 a[136+0:139+0], v[vgprValuB_X2_I0+8+0+0:vgprValuB_X2_I0+8+0+0+1], v[vgprValuA_X2_I0+4+0+0:vgprValuA_X2_I0+4+0+0+1], a[136:139]
/*  mfmaIndex:147  */
	;; [unrolled: 2-line block ×3, first 2 shown]
/* sched write - iter 2 writesPerItem=1 */
s_waitcnt vmcnt(0)                                 // lgkmcnt=-1 vmcnt=0wait for global read before writing to local
_ds_store_b32 v[vgprLocalWriteAddrB], v[vgprG2LB+7] offset:7616 // lwoB_0_0_7_0 = (0*LSCB)*(MT1J+PAD) + (7*LSPB) = 7616
v_mfma_f32_16x16x32_bf8_bf8 a[144+0:147+0], v[vgprValuB_X2_I0+8+0+0:vgprValuB_X2_I0+8+0+0+1], v[vgprValuA_X2_I0+8+0+0:vgprValuA_X2_I0+8+0+0+1], a[144:147]
/*  mfmaIndex:149  */
v_mfma_f32_16x16x32_bf8_bf8 a[148+0:151+0], v[vgprValuB_X2_I0+8+0+0:vgprValuB_X2_I0+8+0+0+1], v[vgprValuA_X2_I0+10+0+0:vgprValuA_X2_I0+10+0+0+1], a[148:151]
/*  mfmaIndex:150  */
/* sched write - iter 2 writesPerItem=1 */
s_waitcnt vmcnt(0)                                 // lgkmcnt=-1 vmcnt=0wait for global read before writing to local
_ds_store_b32 v[vgprLocalWriteAddrB], v[vgprG2LB+8] offset:8704 // lwoB_0_0_8_0 = (0*LSCB)*(MT1J+PAD) + (8*LSPB) = 8704
v_mfma_f32_16x16x32_bf8_bf8 a[152+0:155+0], v[vgprValuB_X2_I0+8+0+0:vgprValuB_X2_I0+8+0+0+1], v[vgprValuA_X2_I0+12+0+0:vgprValuA_X2_I0+12+0+0+1], a[152:155]
/*  mfmaIndex:151  */
v_mfma_f32_16x16x32_bf8_bf8 a[156+0:159+0], v[vgprValuB_X2_I0+8+0+0:vgprValuB_X2_I0+8+0+0+1], v[vgprValuA_X2_I0+14+0+0:vgprValuA_X2_I0+14+0+0+1], a[156:159]
/*  mfmaIndex:152  */
	;; [unrolled: 2-line block ×3, first 2 shown]
/* sched write - iter 2 writesPerItem=1 */
s_waitcnt vmcnt(0)                                 // lgkmcnt=-1 vmcnt=0wait for global read before writing to local
_ds_store_b32 v[vgprLocalWriteAddrB], v[vgprG2LB+9] offset:9792 // lwoB_0_0_9_0 = (0*LSCB)*(MT1J+PAD) + (9*LSPB) = 9792
v_mfma_f32_16x16x32_bf8_bf8 a[184+0:187+0], v[vgprValuB_X2_I0+10+0+0:vgprValuB_X2_I0+10+0+0+1], v[vgprValuA_X2_I0+12+0+0:vgprValuA_X2_I0+12+0+0+1], a[184:187]
/*  mfmaIndex:154  */
v_mfma_f32_16x16x32_bf8_bf8 a[180+0:183+0], v[vgprValuB_X2_I0+10+0+0:vgprValuB_X2_I0+10+0+0+1], v[vgprValuA_X2_I0+10+0+0:vgprValuA_X2_I0+10+0+0+1], a[180:183]
/*  mfmaIndex:155  */
/* sched write - iter 2 writesPerItem=1 */
s_waitcnt vmcnt(0)                                 // lgkmcnt=-1 vmcnt=0wait for global read before writing to local
_ds_store_b32 v[vgprLocalWriteAddrB], v[vgprG2LB+10] offset:10880 // lwoB_0_0_10_0 = (0*LSCB)*(MT1J+PAD) + (10*LSPB) = 10880
v_mfma_f32_16x16x32_bf8_bf8 a[176+0:179+0], v[vgprValuB_X2_I0+10+0+0:vgprValuB_X2_I0+10+0+0+1], v[vgprValuA_X2_I0+8+0+0:vgprValuA_X2_I0+8+0+0+1], a[176:179]
/*  mfmaIndex:156  */
v_mfma_f32_16x16x32_bf8_bf8 a[172+0:175+0], v[vgprValuB_X2_I0+10+0+0:vgprValuB_X2_I0+10+0+0+1], v[vgprValuA_X2_I0+6+0+0:vgprValuA_X2_I0+6+0+0+1], a[172:175]
/*  mfmaIndex:157  */
	;; [unrolled: 2-line block ×3, first 2 shown]
/* sched write - iter 2 writesPerItem=1 */
s_waitcnt vmcnt(0)                                 // lgkmcnt=-1 vmcnt=0wait for global read before writing to local
_ds_store_b32 v[vgprLocalWriteAddrB], v[vgprG2LB+11] offset:11968 // lwoB_0_0_11_0 = (0*LSCB)*(MT1J+PAD) + (11*LSPB) = 11968
v_mfma_f32_16x16x32_bf8_bf8 a[164+0:167+0], v[vgprValuB_X2_I0+10+0+0:vgprValuB_X2_I0+10+0+0+1], v[vgprValuA_X2_I0+2+0+0:vgprValuA_X2_I0+2+0+0+1], a[164:167]
/*  mfmaIndex:159  */
v_mfma_f32_16x16x32_bf8_bf8 a[160+0:163+0], v[vgprValuB_X2_I0+10+0+0:vgprValuB_X2_I0+10+0+0+1], v[vgprValuA_X2_I0+0+0+0:vgprValuA_X2_I0+0+0+0+1], a[160:163]
/*  mfmaIndex:160  */
/* sched write - iter 2 writesPerItem=1 */
s_waitcnt vmcnt(0)                                 // lgkmcnt=-1 vmcnt=0wait for global read before writing to local
_ds_store_b32 v[vgprLocalWriteAddrB], v[vgprG2LB+12] offset:13056 // lwoB_0_0_12_0 = (0*LSCB)*(MT1J+PAD) + (12*LSPB) = 13056
v_mfma_f32_16x16x32_bf8_bf8 a[192+0:195+0], v[vgprValuB_X2_I0+12+0+0:vgprValuB_X2_I0+12+0+0+1], v[vgprValuA_X2_I0+0+0+0:vgprValuA_X2_I0+0+0+0+1], a[192:195]
/*  mfmaIndex:161  */
v_mfma_f32_16x16x32_bf8_bf8 a[196+0:199+0], v[vgprValuB_X2_I0+12+0+0:vgprValuB_X2_I0+12+0+0+1], v[vgprValuA_X2_I0+2+0+0:vgprValuA_X2_I0+2+0+0+1], a[196:199]
/*  mfmaIndex:162  */
	;; [unrolled: 2-line block ×3, first 2 shown]
/* sched write - iter 2 writesPerItem=1 */
s_waitcnt vmcnt(0)                                 // lgkmcnt=-1 vmcnt=0wait for global read before writing to local
_ds_store_b32 v[vgprLocalWriteAddrB], v[vgprG2LB+13] offset:14144 // lwoB_0_0_13_0 = (0*LSCB)*(MT1J+PAD) + (13*LSPB) = 14144
v_mfma_f32_16x16x32_bf8_bf8 a[204+0:207+0], v[vgprValuB_X2_I0+12+0+0:vgprValuB_X2_I0+12+0+0+1], v[vgprValuA_X2_I0+6+0+0:vgprValuA_X2_I0+6+0+0+1], a[204:207]
/*  mfmaIndex:164  */
v_mfma_f32_16x16x32_bf8_bf8 a[208+0:211+0], v[vgprValuB_X2_I0+12+0+0:vgprValuB_X2_I0+12+0+0+1], v[vgprValuA_X2_I0+8+0+0:vgprValuA_X2_I0+8+0+0+1], a[208:211]
/*  mfmaIndex:165  */
/* sched write - iter 2 writesPerItem=1 */
s_waitcnt vmcnt(0)                                 // lgkmcnt=-1 vmcnt=0wait for global read before writing to local
_ds_store_b32 v[vgprLocalWriteAddrB], v[vgprG2LB+14] offset:15232 // lwoB_0_0_14_0 = (0*LSCB)*(MT1J+PAD) + (14*LSPB) = 15232
v_mfma_f32_16x16x32_bf8_bf8 a[212+0:215+0], v[vgprValuB_X2_I0+12+0+0:vgprValuB_X2_I0+12+0+0+1], v[vgprValuA_X2_I0+10+0+0:vgprValuA_X2_I0+10+0+0+1], a[212:215]
/*  mfmaIndex:166  */
v_mfma_f32_16x16x32_bf8_bf8 a[216+0:219+0], v[vgprValuB_X2_I0+12+0+0:vgprValuB_X2_I0+12+0+0+1], v[vgprValuA_X2_I0+12+0+0:vgprValuA_X2_I0+12+0+0+1], a[216:219]
/*  mfmaIndex:167  */

/* local read swap offsets a */

/* local read swap offsets b */

/* local read init pointers a */

/* localReadInitPointers */

/* local read init pointers b */

/* localReadInitPointers */
v_mfma_f32_16x16x32_bf8_bf8 a[220+0:223+0], v[vgprValuB_X2_I0+12+0+0:vgprValuB_X2_I0+12+0+0+1], v[vgprValuA_X2_I0+14+0+0:vgprValuA_X2_I0+14+0+0+1], a[220:223]


/* iter 3 (swap and reset local write pointers iteration)  */

/*  grEndMfmaIndex:18, lwStartMfmaIndex:52, lwEndMfmaIndex:198  */
/*  numMfmaForLR:20, barrierMfmaIndex:203, LocalWritePerMfma:0.405 */
/*  mfmaIndex:168  */
/* sched write - iter 3 writesPerItem=1 */
s_waitcnt vmcnt(0)                                 // lgkmcnt=-1 vmcnt=0wait for global read before writing to local
_ds_store_b32 v[vgprLocalWriteAddrB], v[vgprG2LB+15] offset:16320 // lwoB_0_0_15_0 = (0*LSCB)*(MT1J+PAD) + (15*LSPB) = 16320
v_mfma_f32_16x16x32_bf8_bf8 a[0+0:3+0], v[vgprValuB_X3_I0+0+0+0:vgprValuB_X3_I0+0+0+0+1], v[vgprValuA_X3_I0+0+0+0:vgprValuA_X3_I0+0+0+0+1], a[0:3]
/*  mfmaIndex:169  */
v_mfma_f32_16x16x32_bf8_bf8 a[4+0:7+0], v[vgprValuB_X3_I0+0+0+0:vgprValuB_X3_I0+0+0+0+1], v[vgprValuA_X3_I0+2+0+0:vgprValuA_X3_I0+2+0+0+1], a[4:7]
/*  mfmaIndex:170  */
/* sched write - iter 3 writesPerItem=1 */
s_waitcnt vmcnt(0)                                 // lgkmcnt=-1 vmcnt=0wait for global read before writing to local
_ds_store_b32 v[vgprLocalWriteAddrB], v[vgprG2LB+16] offset:17408 // lwoB_0_0_16_0 = (0*LSCB)*(MT1J+PAD) + (16*LSPB) = 17408
v_mfma_f32_16x16x32_bf8_bf8 a[8+0:11+0], v[vgprValuB_X3_I0+0+0+0:vgprValuB_X3_I0+0+0+0+1], v[vgprValuA_X3_I0+4+0+0:vgprValuA_X3_I0+4+0+0+1], a[8:11]
/*  mfmaIndex:171  */
v_mfma_f32_16x16x32_bf8_bf8 a[12+0:15+0], v[vgprValuB_X3_I0+0+0+0:vgprValuB_X3_I0+0+0+0+1], v[vgprValuA_X3_I0+6+0+0:vgprValuA_X3_I0+6+0+0+1], a[12:15]
/*  mfmaIndex:172  */
/* sched write - iter 3 writesPerItem=1 */
s_waitcnt vmcnt(0)                                 // lgkmcnt=-1 vmcnt=0wait for global read before writing to local
_ds_store_b32 v[vgprLocalWriteAddrB], v[vgprG2LB+17] offset:18496 // lwoB_0_0_17_0 = (0*LSCB)*(MT1J+PAD) + (17*LSPB) = 18496
v_mfma_f32_16x16x32_bf8_bf8 a[16+0:19+0], v[vgprValuB_X3_I0+0+0+0:vgprValuB_X3_I0+0+0+0+1], v[vgprValuA_X3_I0+8+0+0:vgprValuA_X3_I0+8+0+0+1], a[16:19]
/*  mfmaIndex:173  */
v_mfma_f32_16x16x32_bf8_bf8 a[20+0:23+0], v[vgprValuB_X3_I0+0+0+0:vgprValuB_X3_I0+0+0+0+1], v[vgprValuA_X3_I0+10+0+0:vgprValuA_X3_I0+10+0+0+1], a[20:23]
/*  mfmaIndex:174  */
	;; [unrolled: 2-line block ×3, first 2 shown]
/* sched write - iter 3 writesPerItem=1 */
s_waitcnt vmcnt(0)                                 // lgkmcnt=-1 vmcnt=0wait for global read before writing to local
_ds_store_b32 v[vgprLocalWriteAddrB], v[vgprG2LB+18] offset:19584 // lwoB_0_0_18_0 = (0*LSCB)*(MT1J+PAD) + (18*LSPB) = 19584
v_mfma_f32_16x16x32_bf8_bf8 a[28+0:31+0], v[vgprValuB_X3_I0+0+0+0:vgprValuB_X3_I0+0+0+0+1], v[vgprValuA_X3_I0+14+0+0:vgprValuA_X3_I0+14+0+0+1], a[28:31]
/*  mfmaIndex:176  */
v_mfma_f32_16x16x32_bf8_bf8 a[60+0:63+0], v[vgprValuB_X3_I0+2+0+0:vgprValuB_X3_I0+2+0+0+1], v[vgprValuA_X3_I0+14+0+0:vgprValuA_X3_I0+14+0+0+1], a[60:63]
/*  mfmaIndex:177  */
/* sched write - iter 3 writesPerItem=1 */
s_waitcnt vmcnt(0)                                 // lgkmcnt=-1 vmcnt=0wait for global read before writing to local
_ds_store_b32 v[vgprLocalWriteAddrB], v[vgprG2LB+19] offset:20672 // lwoB_0_0_19_0 = (0*LSCB)*(MT1J+PAD) + (19*LSPB) = 20672
v_mfma_f32_16x16x32_bf8_bf8 a[56+0:59+0], v[vgprValuB_X3_I0+2+0+0:vgprValuB_X3_I0+2+0+0+1], v[vgprValuA_X3_I0+12+0+0:vgprValuA_X3_I0+12+0+0+1], a[56:59]
/*  mfmaIndex:178  */
v_mfma_f32_16x16x32_bf8_bf8 a[52+0:55+0], v[vgprValuB_X3_I0+2+0+0:vgprValuB_X3_I0+2+0+0+1], v[vgprValuA_X3_I0+10+0+0:vgprValuA_X3_I0+10+0+0+1], a[52:55]
/*  mfmaIndex:179  */
	;; [unrolled: 2-line block ×3, first 2 shown]
/* sched write - iter 3 writesPerItem=1 */
s_waitcnt vmcnt(0)                                 // lgkmcnt=-1 vmcnt=0wait for global read before writing to local
_ds_store_b32 v[vgprLocalWriteAddrB], v[vgprG2LB+20] offset:21760 // lwoB_0_0_20_0 = (0*LSCB)*(MT1J+PAD) + (20*LSPB) = 21760
v_mfma_f32_16x16x32_bf8_bf8 a[44+0:47+0], v[vgprValuB_X3_I0+2+0+0:vgprValuB_X3_I0+2+0+0+1], v[vgprValuA_X3_I0+6+0+0:vgprValuA_X3_I0+6+0+0+1], a[44:47]
/*  mfmaIndex:181  */
v_mfma_f32_16x16x32_bf8_bf8 a[40+0:43+0], v[vgprValuB_X3_I0+2+0+0:vgprValuB_X3_I0+2+0+0+1], v[vgprValuA_X3_I0+4+0+0:vgprValuA_X3_I0+4+0+0+1], a[40:43]
/*  mfmaIndex:182  */
/* sched write - iter 3 writesPerItem=1 */
s_waitcnt vmcnt(0)                                 // lgkmcnt=-1 vmcnt=0wait for global read before writing to local
_ds_store_b32 v[vgprLocalWriteAddrB], v[vgprG2LB+21] offset:22848 // lwoB_0_0_21_0 = (0*LSCB)*(MT1J+PAD) + (21*LSPB) = 22848
v_mfma_f32_16x16x32_bf8_bf8 a[36+0:39+0], v[vgprValuB_X3_I0+2+0+0:vgprValuB_X3_I0+2+0+0+1], v[vgprValuA_X3_I0+2+0+0:vgprValuA_X3_I0+2+0+0+1], a[36:39]
/*  mfmaIndex:183  */
v_mfma_f32_16x16x32_bf8_bf8 a[32+0:35+0], v[vgprValuB_X3_I0+2+0+0:vgprValuB_X3_I0+2+0+0+1], v[vgprValuA_X3_I0+0+0+0:vgprValuA_X3_I0+0+0+0+1], a[32:35]
/*  mfmaIndex:184  */
	;; [unrolled: 2-line block ×3, first 2 shown]
/* sched write - iter 3 writesPerItem=1 */
s_waitcnt vmcnt(0)                                 // lgkmcnt=-1 vmcnt=0wait for global read before writing to local
_ds_store_b32 v[vgprLocalWriteAddrB], v[vgprG2LB+22] offset:23936 // lwoB_0_0_22_0 = (0*LSCB)*(MT1J+PAD) + (22*LSPB) = 23936
v_mfma_f32_16x16x32_bf8_bf8 a[68+0:71+0], v[vgprValuB_X3_I0+4+0+0:vgprValuB_X3_I0+4+0+0+1], v[vgprValuA_X3_I0+2+0+0:vgprValuA_X3_I0+2+0+0+1], a[68:71]
/*  mfmaIndex:186  */
v_mfma_f32_16x16x32_bf8_bf8 a[72+0:75+0], v[vgprValuB_X3_I0+4+0+0:vgprValuB_X3_I0+4+0+0+1], v[vgprValuA_X3_I0+4+0+0:vgprValuA_X3_I0+4+0+0+1], a[72:75]
/*  mfmaIndex:187  */
/* sched write - iter 3 writesPerItem=1 */
s_waitcnt vmcnt(0)                                 // lgkmcnt=-1 vmcnt=0wait for global read before writing to local
_ds_store_b32 v[vgprLocalWriteAddrB], v[vgprG2LB+23] offset:25024 // lwoB_0_0_23_0 = (0*LSCB)*(MT1J+PAD) + (23*LSPB) = 25024
v_mfma_f32_16x16x32_bf8_bf8 a[76+0:79+0], v[vgprValuB_X3_I0+4+0+0:vgprValuB_X3_I0+4+0+0+1], v[vgprValuA_X3_I0+6+0+0:vgprValuA_X3_I0+6+0+0+1], a[76:79]
/*  mfmaIndex:188  */
v_mfma_f32_16x16x32_bf8_bf8 a[80+0:83+0], v[vgprValuB_X3_I0+4+0+0:vgprValuB_X3_I0+4+0+0+1], v[vgprValuA_X3_I0+8+0+0:vgprValuA_X3_I0+8+0+0+1], a[80:83]
/*  mfmaIndex:189  */
	;; [unrolled: 2-line block ×3, first 2 shown]
/* sched write - iter 3 writesPerItem=1 */
s_waitcnt vmcnt(0)                                 // lgkmcnt=-1 vmcnt=0wait for global read before writing to local
_ds_store_b32 v[vgprLocalWriteAddrB], v[vgprG2LB+24] offset:26112 // lwoB_0_0_24_0 = (0*LSCB)*(MT1J+PAD) + (24*LSPB) = 26112
v_mfma_f32_16x16x32_bf8_bf8 a[88+0:91+0], v[vgprValuB_X3_I0+4+0+0:vgprValuB_X3_I0+4+0+0+1], v[vgprValuA_X3_I0+12+0+0:vgprValuA_X3_I0+12+0+0+1], a[88:91]
/*  mfmaIndex:191  */
v_mfma_f32_16x16x32_bf8_bf8 a[92+0:95+0], v[vgprValuB_X3_I0+4+0+0:vgprValuB_X3_I0+4+0+0+1], v[vgprValuA_X3_I0+14+0+0:vgprValuA_X3_I0+14+0+0+1], a[92:95]
/*  mfmaIndex:192  */
/* sched write - iter 3 writesPerItem=1 */
s_waitcnt vmcnt(0)                                 // lgkmcnt=-1 vmcnt=0wait for global read before writing to local
_ds_store_b32 v[vgprLocalWriteAddrB], v[vgprG2LB+25] offset:27200 // lwoB_0_0_25_0 = (0*LSCB)*(MT1J+PAD) + (25*LSPB) = 27200
v_mfma_f32_16x16x32_bf8_bf8 a[124+0:127+0], v[vgprValuB_X3_I0+6+0+0:vgprValuB_X3_I0+6+0+0+1], v[vgprValuA_X3_I0+14+0+0:vgprValuA_X3_I0+14+0+0+1], a[124:127]
/*  mfmaIndex:193  */
v_mfma_f32_16x16x32_bf8_bf8 a[120+0:123+0], v[vgprValuB_X3_I0+6+0+0:vgprValuB_X3_I0+6+0+0+1], v[vgprValuA_X3_I0+12+0+0:vgprValuA_X3_I0+12+0+0+1], a[120:123]
/*  mfmaIndex:194  */
	;; [unrolled: 2-line block ×3, first 2 shown]
/* sched write - iter 3 writesPerItem=1 */
s_waitcnt vmcnt(0)                                 // lgkmcnt=-1 vmcnt=0wait for global read before writing to local
_ds_store_b32 v[vgprLocalWriteAddrB], v[vgprG2LB+26] offset:28288 // lwoB_0_0_26_0 = (0*LSCB)*(MT1J+PAD) + (26*LSPB) = 28288
v_mfma_f32_16x16x32_bf8_bf8 a[112+0:115+0], v[vgprValuB_X3_I0+6+0+0:vgprValuB_X3_I0+6+0+0+1], v[vgprValuA_X3_I0+8+0+0:vgprValuA_X3_I0+8+0+0+1], a[112:115]
/*  mfmaIndex:196  */
v_mfma_f32_16x16x32_bf8_bf8 a[108+0:111+0], v[vgprValuB_X3_I0+6+0+0:vgprValuB_X3_I0+6+0+0+1], v[vgprValuA_X3_I0+6+0+0:vgprValuA_X3_I0+6+0+0+1], a[108:111]
/*  mfmaIndex:197  */
/* sched write - iter 3 writesPerItem=1 */
s_waitcnt vmcnt(0)                                 // lgkmcnt=-1 vmcnt=0wait for global read before writing to local
_ds_store_b32 v[vgprLocalWriteAddrB], v[vgprG2LB+27] offset:29376 // lwoB_0_0_27_0 = (0*LSCB)*(MT1J+PAD) + (27*LSPB) = 29376
v_mfma_f32_16x16x32_bf8_bf8 a[104+0:107+0], v[vgprValuB_X3_I0+6+0+0:vgprValuB_X3_I0+6+0+0+1], v[vgprValuA_X3_I0+4+0+0:vgprValuA_X3_I0+4+0+0+1], a[104:107]
/*  mfmaIndex:198  */

/* local write swap offsets a */

/* local write swap offsets b */
v_mfma_f32_16x16x32_bf8_bf8 a[100+0:103+0], v[vgprValuB_X3_I0+6+0+0:vgprValuB_X3_I0+6+0+0+1], v[vgprValuA_X3_I0+2+0+0:vgprValuA_X3_I0+2+0+0+1], a[100:103]
/*  mfmaIndex:199  */
v_mfma_f32_16x16x32_bf8_bf8 a[96+0:99+0], v[vgprValuB_X3_I0+6+0+0:vgprValuB_X3_I0+6+0+0+1], v[vgprValuA_X3_I0+0+0+0:vgprValuA_X3_I0+0+0+0+1], a[96:99]
/*  mfmaIndex:200  */
	;; [unrolled: 2-line block ×4, first 2 shown]
v_mfma_f32_16x16x32_bf8_bf8 a[136+0:139+0], v[vgprValuB_X3_I0+8+0+0:vgprValuB_X3_I0+8+0+0+1], v[vgprValuA_X3_I0+4+0+0:vgprValuA_X3_I0+4+0+0+1], a[136:139]
s_setprio 0                                        // store optimization
/*  mfmaIndex:203  */
s_waitcnt lgkmcnt(0)                               // lgkmcnt=0 vmcnt=-13wait for local write
// Skip force waitcnt0
s_barrier //
v_mfma_f32_16x16x32_bf8_bf8 a[140+0:143+0], v[vgprValuB_X3_I0+8+0+0:vgprValuB_X3_I0+8+0+0+1], v[vgprValuA_X3_I0+6+0+0:vgprValuA_X3_I0+6+0+0+1], a[140:143]
/*  mfmaIndex:204  */
s_setprio 3                                        // store optimization
_ds_load_b64 v[vgprValuA_X0_I0+0:vgprValuA_X0_I0+0+1], v[vgprLocalReadAddrA] offset:0 // L -> Reg lro=0 swapByteOffset=0 ti=256 vIdx=0 rIdx=0 oIdx=0 buffer=0 iui=0
v_mfma_f32_16x16x32_bf8_bf8 a[144+0:147+0], v[vgprValuB_X3_I0+8+0+0:vgprValuB_X3_I0+8+0+0+1], v[vgprValuA_X3_I0+8+0+0:vgprValuA_X3_I0+8+0+0+1], a[144:147]
/*  mfmaIndex:205  */
_ds_load_b64 v[vgprValuB_X0_I0+0:vgprValuB_X0_I0+0+1], v[vgprLocalReadAddrB] offset:0 // L -> Reg lro=0 swapByteOffset=0 ti=32 vIdx=0 rIdx=0 oIdx=0 buffer=0 iui=0
v_mfma_f32_16x16x32_bf8_bf8 a[148+0:151+0], v[vgprValuB_X3_I0+8+0+0:vgprValuB_X3_I0+8+0+0+1], v[vgprValuA_X3_I0+10+0+0:vgprValuA_X3_I0+10+0+0+1], a[148:151]
/*  mfmaIndex:206  */
_ds_load_b64 v[vgprValuA_X0_I0+2:vgprValuA_X0_I0+2+1], v[vgprLocalReadAddrA] offset:128 // L -> Reg lro=0 swapByteOffset=0 ti=256 vIdx=0 rIdx=0 oIdx=0 buffer=0 iui=0
v_mfma_f32_16x16x32_bf8_bf8 a[152+0:155+0], v[vgprValuB_X3_I0+8+0+0:vgprValuB_X3_I0+8+0+0+1], v[vgprValuA_X3_I0+12+0+0:vgprValuA_X3_I0+12+0+0+1], a[152:155]
/*  mfmaIndex:207  */
_ds_load_b64 v[vgprValuA_X0_I0+4:vgprValuA_X0_I0+4+1], v[vgprLocalReadAddrA] offset:256 // L -> Reg lro=0 swapByteOffset=0 ti=256 vIdx=0 rIdx=0 oIdx=0 buffer=0 iui=0
	;; [unrolled: 3-line block ×7, first 2 shown]
v_mfma_f32_16x16x32_bf8_bf8 a[172+0:175+0], v[vgprValuB_X3_I0+10+0+0:vgprValuB_X3_I0+10+0+0+1], v[vgprValuA_X3_I0+6+0+0:vgprValuA_X3_I0+6+0+0+1], a[172:175]
/*  mfmaIndex:213  */
_ds_load_b64 v[vgprValuB_X0_I0+2:vgprValuB_X0_I0+2+1], v[vgprLocalReadAddrB] offset:4352 // L -> Reg lro=0 swapByteOffset=0 ti=32 vIdx=1 rIdx=0 oIdx=0 buffer=0 iui=0
v_mfma_f32_16x16x32_bf8_bf8 a[168+0:171+0], v[vgprValuB_X3_I0+10+0+0:vgprValuB_X3_I0+10+0+0+1], v[vgprValuA_X3_I0+4+0+0:vgprValuA_X3_I0+4+0+0+1], a[168:171]
/*  mfmaIndex:214  */
_ds_load_b64 v[vgprValuB_X0_I0+4:vgprValuB_X0_I0+4+1], v[vgprLocalReadAddrB] offset:8704 // L -> Reg lro=0 swapByteOffset=0 ti=32 vIdx=2 rIdx=0 oIdx=0 buffer=0 iui=0
v_mfma_f32_16x16x32_bf8_bf8 a[164+0:167+0], v[vgprValuB_X3_I0+10+0+0:vgprValuB_X3_I0+10+0+0+1], v[vgprValuA_X3_I0+2+0+0:vgprValuA_X3_I0+2+0+0+1], a[164:167]
/*  mfmaIndex:215  */
_ds_load_b64 v[vgprValuB_X0_I0+6:vgprValuB_X0_I0+6+1], v[vgprLocalReadAddrB] offset:13056 // L -> Reg lro=0 swapByteOffset=0 ti=32 vIdx=3 rIdx=0 oIdx=0 buffer=0 iui=0
v_mfma_f32_16x16x32_bf8_bf8 a[160+0:163+0], v[vgprValuB_X3_I0+10+0+0:vgprValuB_X3_I0+10+0+0+1], v[vgprValuA_X3_I0+0+0+0:vgprValuA_X3_I0+0+0+0+1], a[160:163]
/*  mfmaIndex:216  */
_ds_load_b64 v[vgprValuB_X0_I0+8:vgprValuB_X0_I0+8+1], v[vgprLocalReadAddrB] offset:17408 // L -> Reg lro=0 swapByteOffset=0 ti=32 vIdx=4 rIdx=0 oIdx=0 buffer=0 iui=0
v_mfma_f32_16x16x32_bf8_bf8 a[192+0:195+0], v[vgprValuB_X3_I0+12+0+0:vgprValuB_X3_I0+12+0+0+1], v[vgprValuA_X3_I0+0+0+0:vgprValuA_X3_I0+0+0+0+1], a[192:195]
/*  mfmaIndex:217  */
_ds_load_b64 v[vgprValuB_X0_I0+10:vgprValuB_X0_I0+10+1], v[vgprLocalReadAddrB] offset:21760 // L -> Reg lro=0 swapByteOffset=0 ti=32 vIdx=5 rIdx=0 oIdx=0 buffer=0 iui=0
v_mfma_f32_16x16x32_bf8_bf8 a[196+0:199+0], v[vgprValuB_X3_I0+12+0+0:vgprValuB_X3_I0+12+0+0+1], v[vgprValuA_X3_I0+2+0+0:vgprValuA_X3_I0+2+0+0+1], a[196:199]
/*  mfmaIndex:218  */
_ds_load_b64 v[vgprValuB_X0_I0+12:vgprValuB_X0_I0+12+1], v[vgprLocalReadAddrB] offset:26112 // L -> Reg lro=0 swapByteOffset=0 ti=32 vIdx=6 rIdx=0 oIdx=0 buffer=0 iui=0
v_mfma_f32_16x16x32_bf8_bf8 a[200+0:203+0], v[vgprValuB_X3_I0+12+0+0:vgprValuB_X3_I0+12+0+0+1], v[vgprValuA_X3_I0+4+0+0:vgprValuA_X3_I0+4+0+0+1], a[200:203]
/*  mfmaIndex:219  */
v_mfma_f32_16x16x32_bf8_bf8 a[204+0:207+0], v[vgprValuB_X3_I0+12+0+0:vgprValuB_X3_I0+12+0+0+1], v[vgprValuA_X3_I0+6+0+0:vgprValuA_X3_I0+6+0+0+1], a[204:207]
/*  mfmaIndex:220  */
	;; [unrolled: 2-line block ×5, first 2 shown]
v_mfma_f32_16x16x32_bf8_bf8 a[220+0:223+0], v[vgprValuB_X3_I0+12+0+0:vgprValuB_X3_I0+12+0+0+1], v[vgprValuA_X3_I0+14+0+0:vgprValuA_X3_I0+14+0+0+1], a[220:223]
s_setprio 0                                        // store optimization

label_0014:


/******************************************/
/* Opt. NoLoadLoop Without PAP - Begin                                      */
/******************************************/

s_cmpk_eq_u32 s[sgprBeta], 0x0                     // Beta == 0
s_cbranch_scc0 OptNLL_End_17                       // Branch if Beta is not zero

s_cmp_eq_u32 s[sgprAlpha], 1.0                     // Alpha == 1.0 ?
s_cbranch_scc0 OptNLL_End_17                       // branch if alpha != 1

s_and_b32 s56, 255, s[sgprSizeI]                   // s56 = s[sgprSizeI] % 256
s_add_u32 s57, -0x1, s[sgprNumWorkGroups0]         // 
s_cmp_ge_u32 s[sgprWorkGroup0], s57                // wg0 >= nwg0-1 ?
s_cselect_b32 s56, s56, 0                          // set rMT0
s_cmpk_gt_u32 s56, 0x0                             // rMT0 > 0
s_cbranch_scc1 OptNLL_End_17                       // jump if edges required
s_mov_b32 s59, 0x0                                 // STATIC_DIV: divisior=224
s_mul_i32 s58, 0x249, s[sgprSizeJ]                 // tmp1 = dividend * magic hi
s_lshl_b64 s[58:59], s[58:59], 0x10                // left shift 16 bits
s_mul_i32 s57, s[sgprSizeJ], 0x2493                // tmp0 = dividend * magic lo
s_add_u32 s58, s57, s58                            // add lo
s_addc_u32 s59, s59, 0x0                           // add hi
s_lshr_b64 s[58:59], s[58:59], 0x21                // tmp1 = (dividend * magic) << shift
s_mov_b32 s57, s58                                 // quotient
s_mul_i32 s58, s57, 0xe0                           // quotient*divisor
s_sub_u32 s56, s[sgprSizeJ], s58                   // rReg = dividend - quotient*divisor
s_add_u32 s57, -0x1, s[sgprNumWorkGroups1]         // 
s_cmp_ge_u32 s[sgprWorkGroup1], s57                // wg1 >= nwg1-1
s_cselect_b32 s56, s56, 0                          // set rMT1
s_cmpk_gt_u32 s56, 0x0                             // rMT1 > 0
s_cbranch_scc1 OptNLL_End_17                       // jump if edges required


	;; [unrolled: 1-line block ×4, first 2 shown]
/* iter 0 (last unrolled loop) */

/*  grEndMfmaIndex:0, lwStartMfmaIndex:198, lwEndMfmaIndex:198  */
/*  numMfmaForLR:20, barrierMfmaIndex:203, LocalWritePerMfma:0.405 */
/*  mfmaIndex:0  */
s_waitcnt lgkmcnt(0)                               // lgkmcnt=0 vmcnt=-1wait for prior local read local write old=0, new=0 newLW=0 newLR=0
v_mfma_f32_16x16x32_bf8_bf8 a[0+0:3+0], v[vgprValuB_X0_I0+0+0+0:vgprValuB_X0_I0+0+0+0+1], v[vgprValuA_X0_I0+0+0+0:vgprValuA_X0_I0+0+0+0+1], a[0:3]
/*  mfmaIndex:1  */
_ds_load_b64 v[vgprValuA_X1_I0+0:vgprValuA_X1_I0+0+1], v[vgprLocalReadAddrA] offset:32 // L -> Reg lro=32 swapByteOffset=0 ti=256 vIdx=0 rIdx=0 oIdx=0 buffer=1 iui=0
v_mfma_f32_16x16x32_bf8_bf8 a[4+0:7+0], v[vgprValuB_X0_I0+0+0+0:vgprValuB_X0_I0+0+0+0+1], v[vgprValuA_X0_I0+2+0+0:vgprValuA_X0_I0+2+0+0+1], a[4:7]
/*  mfmaIndex:2  */
_ds_load_b64 v[vgprValuB_X1_I0+0:vgprValuB_X1_I0+0+1], v[vgprLocalReadAddrB] offset:32 // L -> Reg lro=32 swapByteOffset=0 ti=32 vIdx=0 rIdx=0 oIdx=0 buffer=1 iui=0
v_mfma_f32_16x16x32_bf8_bf8 a[8+0:11+0], v[vgprValuB_X0_I0+0+0+0:vgprValuB_X0_I0+0+0+0+1], v[vgprValuA_X0_I0+4+0+0:vgprValuA_X0_I0+4+0+0+1], a[8:11]
/*  mfmaIndex:3  */
_ds_load_b64 v[vgprValuA_X1_I0+2:vgprValuA_X1_I0+2+1], v[vgprLocalReadAddrA] offset:160 // L -> Reg lro=32 swapByteOffset=0 ti=256 vIdx=0 rIdx=0 oIdx=0 buffer=1 iui=0
v_mfma_f32_16x16x32_bf8_bf8 a[12+0:15+0], v[vgprValuB_X0_I0+0+0+0:vgprValuB_X0_I0+0+0+0+1], v[vgprValuA_X0_I0+6+0+0:vgprValuA_X0_I0+6+0+0+1], a[12:15]
/*  mfmaIndex:4  */
_ds_load_b64 v[vgprValuA_X1_I0+4:vgprValuA_X1_I0+4+1], v[vgprLocalReadAddrA] offset:288 // L -> Reg lro=32 swapByteOffset=0 ti=256 vIdx=0 rIdx=0 oIdx=0 buffer=1 iui=0
v_mfma_f32_16x16x32_bf8_bf8 a[16+0:19+0], v[vgprValuB_X0_I0+0+0+0:vgprValuB_X0_I0+0+0+0+1], v[vgprValuA_X0_I0+8+0+0:vgprValuA_X0_I0+8+0+0+1], a[16:19]
/*  mfmaIndex:5  */
_ds_load_b64 v[vgprValuA_X1_I0+6:vgprValuA_X1_I0+6+1], v[vgprLocalReadAddrA] offset:416 // L -> Reg lro=32 swapByteOffset=0 ti=256 vIdx=0 rIdx=0 oIdx=0 buffer=1 iui=0
v_mfma_f32_16x16x32_bf8_bf8 a[20+0:23+0], v[vgprValuB_X0_I0+0+0+0:vgprValuB_X0_I0+0+0+0+1], v[vgprValuA_X0_I0+10+0+0:vgprValuA_X0_I0+10+0+0+1], a[20:23]
/*  mfmaIndex:6  */
_ds_load_b64 v[vgprValuA_X1_I0+8:vgprValuA_X1_I0+8+1], v[vgprLocalReadAddrA] offset:544 // L -> Reg lro=32 swapByteOffset=0 ti=256 vIdx=0 rIdx=0 oIdx=0 buffer=1 iui=0
v_mfma_f32_16x16x32_bf8_bf8 a[24+0:27+0], v[vgprValuB_X0_I0+0+0+0:vgprValuB_X0_I0+0+0+0+1], v[vgprValuA_X0_I0+12+0+0:vgprValuA_X0_I0+12+0+0+1], a[24:27]
/*  mfmaIndex:7  */
_ds_load_b64 v[vgprValuA_X1_I0+10:vgprValuA_X1_I0+10+1], v[vgprLocalReadAddrA] offset:672 // L -> Reg lro=32 swapByteOffset=0 ti=256 vIdx=0 rIdx=0 oIdx=0 buffer=1 iui=0
v_mfma_f32_16x16x32_bf8_bf8 a[28+0:31+0], v[vgprValuB_X0_I0+0+0+0:vgprValuB_X0_I0+0+0+0+1], v[vgprValuA_X0_I0+14+0+0:vgprValuA_X0_I0+14+0+0+1], a[28:31]
/*  mfmaIndex:8  */
_ds_load_b64 v[vgprValuA_X1_I0+12:vgprValuA_X1_I0+12+1], v[vgprLocalReadAddrA] offset:800 // L -> Reg lro=32 swapByteOffset=0 ti=256 vIdx=0 rIdx=0 oIdx=0 buffer=1 iui=0
v_mfma_f32_16x16x32_bf8_bf8 a[60+0:63+0], v[vgprValuB_X0_I0+2+0+0:vgprValuB_X0_I0+2+0+0+1], v[vgprValuA_X0_I0+14+0+0:vgprValuA_X0_I0+14+0+0+1], a[60:63]
/*  mfmaIndex:9  */
_ds_load_b64 v[vgprValuA_X1_I0+14:vgprValuA_X1_I0+14+1], v[vgprLocalReadAddrA] offset:928 // L -> Reg lro=32 swapByteOffset=0 ti=256 vIdx=0 rIdx=0 oIdx=0 buffer=1 iui=0
v_mfma_f32_16x16x32_bf8_bf8 a[56+0:59+0], v[vgprValuB_X0_I0+2+0+0:vgprValuB_X0_I0+2+0+0+1], v[vgprValuA_X0_I0+12+0+0:vgprValuA_X0_I0+12+0+0+1], a[56:59]
/*  mfmaIndex:10  */
_ds_load_b64 v[vgprValuB_X1_I0+2:vgprValuB_X1_I0+2+1], v[vgprLocalReadAddrB] offset:4384 // L -> Reg lro=32 swapByteOffset=0 ti=32 vIdx=1 rIdx=0 oIdx=0 buffer=1 iui=0
v_mfma_f32_16x16x32_bf8_bf8 a[52+0:55+0], v[vgprValuB_X0_I0+2+0+0:vgprValuB_X0_I0+2+0+0+1], v[vgprValuA_X0_I0+10+0+0:vgprValuA_X0_I0+10+0+0+1], a[52:55]
/*  mfmaIndex:11  */
_ds_load_b64 v[vgprValuB_X1_I0+4:vgprValuB_X1_I0+4+1], v[vgprLocalReadAddrB] offset:8736 // L -> Reg lro=32 swapByteOffset=0 ti=32 vIdx=2 rIdx=0 oIdx=0 buffer=1 iui=0
	;; [unrolled: 3-line block ×6, first 2 shown]
v_mfma_f32_16x16x32_bf8_bf8 a[32+0:35+0], v[vgprValuB_X0_I0+2+0+0:vgprValuB_X0_I0+2+0+0+1], v[vgprValuA_X0_I0+0+0+0:vgprValuA_X0_I0+0+0+0+1], a[32:35]
/*  mfmaIndex:16  */
/* localReadsVacancy: latencyLeft 2 */
_ds_load_b64 v[vgprValuA_X2_I0+0:vgprValuA_X2_I0+0+1], v[vgprLocalReadAddrA] offset:64 // L -> Reg lro=64 swapByteOffset=0 ti=256 vIdx=0 rIdx=0 oIdx=0 buffer=2 iui=0
v_mfma_f32_16x16x32_bf8_bf8 a[64+0:67+0], v[vgprValuB_X0_I0+4+0+0:vgprValuB_X0_I0+4+0+0+1], v[vgprValuA_X0_I0+0+0+0:vgprValuA_X0_I0+0+0+0+1], a[64:67]
/*  mfmaIndex:17  */
/* localReadsVacancy: latencyLeft 2 */
_ds_load_b64 v[vgprValuB_X2_I0+0:vgprValuB_X2_I0+0+1], v[vgprLocalReadAddrB] offset:64 // L -> Reg lro=64 swapByteOffset=0 ti=32 vIdx=0 rIdx=0 oIdx=0 buffer=2 iui=0
v_mfma_f32_16x16x32_bf8_bf8 a[68+0:71+0], v[vgprValuB_X0_I0+4+0+0:vgprValuB_X0_I0+4+0+0+1], v[vgprValuA_X0_I0+2+0+0:vgprValuA_X0_I0+2+0+0+1], a[68:71]
/*  mfmaIndex:18  */
/* localReadsVacancy: latencyLeft 2 */
_ds_load_b64 v[vgprValuA_X2_I0+2:vgprValuA_X2_I0+2+1], v[vgprLocalReadAddrA] offset:192 // L -> Reg lro=64 swapByteOffset=0 ti=256 vIdx=0 rIdx=0 oIdx=0 buffer=2 iui=0
v_mfma_f32_16x16x32_bf8_bf8 a[72+0:75+0], v[vgprValuB_X0_I0+4+0+0:vgprValuB_X0_I0+4+0+0+1], v[vgprValuA_X0_I0+4+0+0:vgprValuA_X0_I0+4+0+0+1], a[72:75]
/*  mfmaIndex:19  */
/* localReadsVacancy: latencyLeft 2 */
_ds_load_b64 v[vgprValuA_X2_I0+4:vgprValuA_X2_I0+4+1], v[vgprLocalReadAddrA] offset:320 // L -> Reg lro=64 swapByteOffset=0 ti=256 vIdx=0 rIdx=0 oIdx=0 buffer=2 iui=0
	;; [unrolled: 4-line block ×7, first 2 shown]
v_mfma_f32_16x16x32_bf8_bf8 a[124+0:127+0], v[vgprValuB_X0_I0+6+0+0:vgprValuB_X0_I0+6+0+0+1], v[vgprValuA_X0_I0+14+0+0:vgprValuA_X0_I0+14+0+0+1], a[124:127]
/*  mfmaIndex:25  */
/* localReadsVacancy: latencyLeft 2 */
_ds_load_b64 v[vgprValuB_X2_I0+2:vgprValuB_X2_I0+2+1], v[vgprLocalReadAddrB] offset:4416 // L -> Reg lro=64 swapByteOffset=0 ti=32 vIdx=1 rIdx=0 oIdx=0 buffer=2 iui=0
v_mfma_f32_16x16x32_bf8_bf8 a[120+0:123+0], v[vgprValuB_X0_I0+6+0+0:vgprValuB_X0_I0+6+0+0+1], v[vgprValuA_X0_I0+12+0+0:vgprValuA_X0_I0+12+0+0+1], a[120:123]
/*  mfmaIndex:26  */
/* localReadsVacancy: latencyLeft 2 */
_ds_load_b64 v[vgprValuB_X2_I0+4:vgprValuB_X2_I0+4+1], v[vgprLocalReadAddrB] offset:8768 // L -> Reg lro=64 swapByteOffset=0 ti=32 vIdx=2 rIdx=0 oIdx=0 buffer=2 iui=0
	;; [unrolled: 4-line block ×6, first 2 shown]
v_mfma_f32_16x16x32_bf8_bf8 a[100+0:103+0], v[vgprValuB_X0_I0+6+0+0:vgprValuB_X0_I0+6+0+0+1], v[vgprValuA_X0_I0+2+0+0:vgprValuA_X0_I0+2+0+0+1], a[100:103]
/*  mfmaIndex:31  */
/* localReadsVacancy: latencyLeft 2 */
_ds_load_b64 v[vgprValuA_X3_I0+0:vgprValuA_X3_I0+0+1], v[vgprLocalReadAddrA] offset:96 // L -> Reg lro=96 swapByteOffset=0 ti=256 vIdx=0 rIdx=0 oIdx=0 buffer=3 iui=0
v_mfma_f32_16x16x32_bf8_bf8 a[96+0:99+0], v[vgprValuB_X0_I0+6+0+0:vgprValuB_X0_I0+6+0+0+1], v[vgprValuA_X0_I0+0+0+0:vgprValuA_X0_I0+0+0+0+1], a[96:99]
/*  mfmaIndex:32  */
/* localReadsVacancy: latencyLeft 2 */
_ds_load_b64 v[vgprValuB_X3_I0+0:vgprValuB_X3_I0+0+1], v[vgprLocalReadAddrB] offset:96 // L -> Reg lro=96 swapByteOffset=0 ti=32 vIdx=0 rIdx=0 oIdx=0 buffer=3 iui=0
v_mfma_f32_16x16x32_bf8_bf8 a[128+0:131+0], v[vgprValuB_X0_I0+8+0+0:vgprValuB_X0_I0+8+0+0+1], v[vgprValuA_X0_I0+0+0+0:vgprValuA_X0_I0+0+0+0+1], a[128:131]
/*  mfmaIndex:33  */
/* localReadsVacancy: latencyLeft 2 */
_ds_load_b64 v[vgprValuA_X3_I0+2:vgprValuA_X3_I0+2+1], v[vgprLocalReadAddrA] offset:224 // L -> Reg lro=96 swapByteOffset=0 ti=256 vIdx=0 rIdx=0 oIdx=0 buffer=3 iui=0
v_mfma_f32_16x16x32_bf8_bf8 a[132+0:135+0], v[vgprValuB_X0_I0+8+0+0:vgprValuB_X0_I0+8+0+0+1], v[vgprValuA_X0_I0+2+0+0:vgprValuA_X0_I0+2+0+0+1], a[132:135]
/*  mfmaIndex:34  */
/* localReadsVacancy: latencyLeft 2 */
_ds_load_b64 v[vgprValuA_X3_I0+4:vgprValuA_X3_I0+4+1], v[vgprLocalReadAddrA] offset:352 // L -> Reg lro=96 swapByteOffset=0 ti=256 vIdx=0 rIdx=0 oIdx=0 buffer=3 iui=0
	;; [unrolled: 4-line block ×7, first 2 shown]
v_mfma_f32_16x16x32_bf8_bf8 a[156+0:159+0], v[vgprValuB_X0_I0+8+0+0:vgprValuB_X0_I0+8+0+0+1], v[vgprValuA_X0_I0+14+0+0:vgprValuA_X0_I0+14+0+0+1], a[156:159]
/*  mfmaIndex:40  */
/* localReadsVacancy: latencyLeft 2 */
_ds_load_b64 v[vgprValuB_X3_I0+2:vgprValuB_X3_I0+2+1], v[vgprLocalReadAddrB] offset:4448 // L -> Reg lro=96 swapByteOffset=0 ti=32 vIdx=1 rIdx=0 oIdx=0 buffer=3 iui=0
v_mfma_f32_16x16x32_bf8_bf8 a[188+0:191+0], v[vgprValuB_X0_I0+10+0+0:vgprValuB_X0_I0+10+0+0+1], v[vgprValuA_X0_I0+14+0+0:vgprValuA_X0_I0+14+0+0+1], a[188:191]
/*  mfmaIndex:41  */
/* localReadsVacancy: latencyLeft 2 */
_ds_load_b64 v[vgprValuB_X3_I0+4:vgprValuB_X3_I0+4+1], v[vgprLocalReadAddrB] offset:8800 // L -> Reg lro=96 swapByteOffset=0 ti=32 vIdx=2 rIdx=0 oIdx=0 buffer=3 iui=0
	;; [unrolled: 4-line block ×6, first 2 shown]
v_mfma_f32_16x16x32_bf8_bf8 a[168+0:171+0], v[vgprValuB_X0_I0+10+0+0:vgprValuB_X0_I0+10+0+0+1], v[vgprValuA_X0_I0+4+0+0:vgprValuA_X0_I0+4+0+0+1], a[168:171]
/*  mfmaIndex:46  */
/* localReadsVacancy: latencyLeft 2 */
v_mfma_f32_16x16x32_bf8_bf8 a[164+0:167+0], v[vgprValuB_X0_I0+10+0+0:vgprValuB_X0_I0+10+0+0+1], v[vgprValuA_X0_I0+2+0+0:vgprValuA_X0_I0+2+0+0+1], a[164:167]
/*  mfmaIndex:47  */
/* localReadsVacancy: latencyLeft 2 */
	;; [unrolled: 3-line block ×10, first 2 shown]
v_mfma_f32_16x16x32_bf8_bf8 a[220+0:223+0], v[vgprValuB_X0_I0+12+0+0:vgprValuB_X0_I0+12+0+0+1], v[vgprValuA_X0_I0+14+0+0:vgprValuA_X0_I0+14+0+0+1], a[220:223]
/* numPrefetchIter=0 */
/* dataAtIterA=-1 numReadsIterA=1 skipReadsIterA=1 readsPerIterA=8 */
/* dataAtIterB=-1 numReadsIterB=1 skipReadsIterB=1 readsPerIterB=7 */


/* iter 1 (last unrolled loop) */

/*  grEndMfmaIndex:0, lwStartMfmaIndex:198, lwEndMfmaIndex:198  */
/*  numMfmaForLR:20, barrierMfmaIndex:203, LocalWritePerMfma:0.405 */
/*  mfmaIndex:56  */
/* localReadsVacancy: latencyLeft 2 */
s_waitcnt lgkmcnt(15)                              // lgkmcnt=0 vmcnt=-1wait for prior local read local write old=15, new=15 newLW=0 newLR=0
v_mfma_f32_16x16x32_bf8_bf8 a[0+0:3+0], v[vgprValuB_X1_I0+0+0+0:vgprValuB_X1_I0+0+0+0+1], v[vgprValuA_X1_I0+0+0+0:vgprValuA_X1_I0+0+0+0+1], a[0:3]
/*  mfmaIndex:57  */
/* localReadsVacancy: latencyLeft 2 */
v_mfma_f32_16x16x32_bf8_bf8 a[4+0:7+0], v[vgprValuB_X1_I0+0+0+0:vgprValuB_X1_I0+0+0+0+1], v[vgprValuA_X1_I0+2+0+0:vgprValuA_X1_I0+2+0+0+1], a[4:7]
/*  mfmaIndex:58  */
/* localReadsVacancy: latencyLeft 2 */
	;; [unrolled: 3-line block ×55, first 2 shown]
v_mfma_f32_16x16x32_bf8_bf8 a[220+0:223+0], v[vgprValuB_X1_I0+12+0+0:vgprValuB_X1_I0+12+0+0+1], v[vgprValuA_X1_I0+14+0+0:vgprValuA_X1_I0+14+0+0+1], a[220:223]
/* numPrefetchIter=0 */
/* dataAtIterA=0 numReadsIterA=2 skipReadsIterA=1 readsPerIterA=8 */
/* dataAtIterB=0 numReadsIterB=2 skipReadsIterB=1 readsPerIterB=7 */


/* iter 2 (last unrolled loop) */

/*  grEndMfmaIndex:0, lwStartMfmaIndex:198, lwEndMfmaIndex:198  */
/*  numMfmaForLR:20, barrierMfmaIndex:203, LocalWritePerMfma:0.405 */
/*  mfmaIndex:112  */
/* localReadsVacancy: latencyLeft 2 */
s_waitcnt lgkmcnt(0)                               // lgkmcnt=0 vmcnt=-1wait for prior local read local write old=0, new=0 newLW=0 newLR=0
v_mfma_f32_16x16x32_bf8_bf8 a[0+0:3+0], v[vgprValuB_X2_I0+0+0+0:vgprValuB_X2_I0+0+0+0+1], v[vgprValuA_X2_I0+0+0+0:vgprValuA_X2_I0+0+0+0+1], a[0:3]
/*  mfmaIndex:113  */
/* localReadsVacancy: latencyLeft 2 */
v_mfma_f32_16x16x32_bf8_bf8 a[4+0:7+0], v[vgprValuB_X2_I0+0+0+0:vgprValuB_X2_I0+0+0+0+1], v[vgprValuA_X2_I0+2+0+0:vgprValuA_X2_I0+2+0+0+1], a[4:7]
/*  mfmaIndex:114  */
/* localReadsVacancy: latencyLeft 2 */
	;; [unrolled: 3-line block ×55, first 2 shown]
v_mfma_f32_16x16x32_bf8_bf8 a[220+0:223+0], v[vgprValuB_X2_I0+12+0+0:vgprValuB_X2_I0+12+0+0+1], v[vgprValuA_X2_I0+14+0+0:vgprValuA_X2_I0+14+0+0+1], a[220:223]
/* numPrefetchIter=0 */
/* dataAtIterA=1 numReadsIterA=3 skipReadsIterA=1 readsPerIterA=8 */
/* dataAtIterB=1 numReadsIterB=3 skipReadsIterB=1 readsPerIterB=7 */


/* iter 3 (last unrolled loop) */

/*  grEndMfmaIndex:0, lwStartMfmaIndex:198, lwEndMfmaIndex:198  */
/*  numMfmaForLR:20, barrierMfmaIndex:203, LocalWritePerMfma:0.405 */
/*  mfmaIndex:168  */
s_waitcnt lgkmcnt(0)                               // lgkmcnt=0 vmcnt=-1wait for prior local read local write old=0, new=0 newLW=0 newLR=0
v_mfma_f32_16x16x32_bf8_bf8 a[0+0:3+0], v[vgprValuB_X3_I0+0+0+0:vgprValuB_X3_I0+0+0+0+1], v[vgprValuA_X3_I0+0+0+0:vgprValuA_X3_I0+0+0+0+1], a[0:3]
/*  mfmaIndex:169  */
v_mfma_f32_16x16x32_bf8_bf8 a[4+0:7+0], v[vgprValuB_X3_I0+0+0+0:vgprValuB_X3_I0+0+0+0+1], v[vgprValuA_X3_I0+2+0+0:vgprValuA_X3_I0+2+0+0+1], a[4:7]
/*  mfmaIndex:170  */
	;; [unrolled: 2-line block ×29, first 2 shown]
/* 1 LDS buffer: read-sync-write */
s_waitcnt lgkmcnt(0)                               // 
s_barrier                                          // 
v_mfma_f32_16x16x32_bf8_bf8 a[104+0:107+0], v[vgprValuB_X3_I0+6+0+0:vgprValuB_X3_I0+6+0+0+1], v[vgprValuA_X3_I0+4+0+0:vgprValuA_X3_I0+4+0+0+1], a[104:107]
/*  mfmaIndex:198  */
s_setprio 3                                        // store optimization
v_mfma_f32_16x16x32_bf8_bf8 a[100+0:103+0], v[vgprValuB_X3_I0+6+0+0:vgprValuB_X3_I0+6+0+0+1], v[vgprValuA_X3_I0+2+0+0:vgprValuA_X3_I0+2+0+0+1], a[100:103]
/*  mfmaIndex:199  */
v_mfma_f32_16x16x32_bf8_bf8 a[96+0:99+0], v[vgprValuB_X3_I0+6+0+0:vgprValuB_X3_I0+6+0+0+1], v[vgprValuA_X3_I0+0+0+0:vgprValuA_X3_I0+0+0+0+1], a[96:99]
/*  mfmaIndex:200  */
	;; [unrolled: 2-line block ×4, first 2 shown]
v_mfma_f32_16x16x32_bf8_bf8 a[136+0:139+0], v[vgprValuB_X3_I0+8+0+0:vgprValuB_X3_I0+8+0+0+1], v[vgprValuA_X3_I0+4+0+0:vgprValuA_X3_I0+4+0+0+1], a[136:139]
s_setprio 0                                        // store optimization
/*  mfmaIndex:203  */
v_mfma_f32_16x16x32_bf8_bf8 a[140+0:143+0], v[vgprValuB_X3_I0+8+0+0:vgprValuB_X3_I0+8+0+0+1], v[vgprValuA_X3_I0+6+0+0:vgprValuA_X3_I0+6+0+0+1], a[140:143]
/*  mfmaIndex:204  */
s_setprio 3                                        // store optimization
v_mfma_f32_16x16x32_bf8_bf8 a[144+0:147+0], v[vgprValuB_X3_I0+8+0+0:vgprValuB_X3_I0+8+0+0+1], v[vgprValuA_X3_I0+8+0+0:vgprValuA_X3_I0+8+0+0+1], a[144:147]
/*  mfmaIndex:205  */
v_mfma_f32_16x16x32_bf8_bf8 a[148+0:151+0], v[vgprValuB_X3_I0+8+0+0:vgprValuB_X3_I0+8+0+0+1], v[vgprValuA_X3_I0+10+0+0:vgprValuA_X3_I0+10+0+0+1], a[148:151]
/*  mfmaIndex:206  */
	;; [unrolled: 2-line block ×19, first 2 shown]
v_mfma_f32_16x16x32_bf8_bf8 a[220+0:223+0], v[vgprValuB_X3_I0+12+0+0:vgprValuB_X3_I0+12+0+0+1], v[vgprValuA_X3_I0+14+0+0:vgprValuA_X3_I0+14+0+0+1], a[220:223]
/* numPrefetchIter=0 */
/* dataAtIterA=2 numReadsIterA=3 skipReadsIterA=0 readsPerIterA=8 */
/* dataAtIterB=2 numReadsIterB=3 skipReadsIterB=0 readsPerIterB=7 */

/* Stores for OptNLL */
Summation_End_OptNLL_18:
s_setprio 0                                        // optimization store
/* endSummation: add vgpr [0...242) to pool */
.set NumFullBlocks, UNDEF
.set WgmRemainder1, UNDEF
.set MagicNumberWgmRemainder1, UNDEF

/* Mapping of Acc register -> C Vgpr register */
/* computeStoreVgprs */
v_lshrrev_b32 v4, 6, v[vgprSerial]                 // v4 = v[vgprSerial] / 64
v_and_b32 v1, 63, v[vgprSerial]                    // v1 = v[vgprSerial] % 64
v_lshrrev_b32 v1, 4, v1                            // v1 = v1 / 16
v_lshlrev_b32 v1, 0x2, v1                          // thread0 * continuous_output
v_lshrrev_b32 v5, 1, v4                            // v5 = v4 / 2
v_mul_lo_u32 v5, 0x10, v5                          // wave coordination offset 1
_v_add_lshl_u32 v1, v5, v1, 0                      // coordination 1 = vwb *(wave_id1 + tid1)
v_mul_lo_u32 v2, v1, s[sgprStrideC1J]              //  offset 1
v_mul_lo_u32 v3, v1, s[sgprStrideD1J]              //  offset 1
v_and_b32 v5, 1, v4                                // v5 = v4 % 2
v_mul_lo_u32 v5, 0x10, v5                          // wave coordination offset 0
v_and_b32 v0, 15, v[vgprSerial]                    // v0 = v[vgprSerial] % 16
_v_add_lshl_u32 v0, v5, v0, 3                      // coordination 0 = vwa *(wave_id0 + tid0)
s_mul_i32 s53, 256, s[sgprWorkGroup0]              // wgp0 * MT0
_v_add_u32 v0, s53, v0                             // coord 0 = (tid0/MI_m)*4 + waveG0*MIB_m + MT0*SG0
s_mul_i32 s53, 224, s[sgprWorkGroup1]              // wgp1 * MT1
_v_add_u32 v1, s53, v1                             // coord 1 = (tid0%MI_m) + waveG1*MIB_n + MT1*SG1
GW_B0_E0_21:

/* edge=0, allocate 2 sgpr. perBatchTmpS=2 perBatchMaskS=0 perElementMaskS=0 elementsPerBatch=29 */
/* optSingleColVgpr=1 optSharedColVgpr=0 optSGPRUsage=BufferLoad_Mask optSrdIncForRow=1 */

/******************************************/
/* Global Write Batch #0 (d1,d0,vc1,vc0) = */
/*    (0,0,0,0:vw8); (0,0,1,0:vw8); (0,0,2,0:vw8); (0,0,3,0:vw8); (1,0,0,0:vw8); (1,0,1,0:vw8); (1,0,2,0:vw8); (1,0,3,0:vw8); (2,0,0,0:vw8); (2,0,1,0:vw8); (2,0,2,0:vw8); (2,0,3,0:vw8); (3,0,0,0:vw8); (3,0,1,0:vw8); (3,0,2,0:vw8); (3,0,3,0:vw8); (4,0,0,0:vw8); (4,0,1,0:vw8); (4,0,2,0:vw8); (4,0,3,0:vw8); (5,0,0,0:vw8); (5,0,1,0:vw8); (5,0,2,0:vw8); (5,0,3,0:vw8); (6,0,0,0:vw8); (6,0,1,0:vw8); (6,0,2,0:vw8); (6,0,3,0:vw8) */
/******************************************/

/* calc coords, apply mask, and issue loads (if necessary) */
/* (d1,vc1,d0,vc0)=(0,0,0,0) */
/* (d1,vc1,d0,vc0)=(0,1,0,0) */
	;; [unrolled: 1-line block ×28, first 2 shown]
_v_add_lshl_u32 v11, v3, v0, 0x0                   // optSingleColVgpr scaleToBpe: sharedAddrVgpr <- cinRowPtr + coord0, scaled by BPE. BSHERE:coord0=0, coord0Vgpr=0
v_accvgpr_read_b32 v[vgprValuC+16], acc0 // copy acc to vreg[0]
v_accvgpr_read_b32 v[vgprValuC+17], acc4 // copy acc to vreg[1]
v_accvgpr_read_b32 v[vgprValuC+18], acc8 // copy acc to vreg[2]
v_accvgpr_read_b32 v[vgprValuC+19], acc12 // copy acc to vreg[3]
v_accvgpr_read_b32 v[vgprValuC+20], acc16 // copy acc to vreg[4]
v_accvgpr_read_b32 v[vgprValuC+21], acc20 // copy acc to vreg[5]
v_accvgpr_read_b32 v[vgprValuC+22], acc24 // copy acc to vreg[6]
v_accvgpr_read_b32 v[vgprValuC+23], acc28 // copy acc to vreg[7]
v_accvgpr_read_b32 v[vgprValuC+24], acc1 // copy acc to vreg[8]
v_accvgpr_read_b32 v[vgprValuC+25], acc5 // copy acc to vreg[9]
v_accvgpr_read_b32 v[vgprValuC+26], acc9 // copy acc to vreg[10]
v_accvgpr_read_b32 v[vgprValuC+27], acc13 // copy acc to vreg[11]
v_accvgpr_read_b32 v[vgprValuC+28], acc17 // copy acc to vreg[12]
v_accvgpr_read_b32 v[vgprValuC+29], acc21 // copy acc to vreg[13]
v_accvgpr_read_b32 v[vgprValuC+30], acc25 // copy acc to vreg[14]
v_accvgpr_read_b32 v[vgprValuC+31], acc29 // copy acc to vreg[15]
v_accvgpr_read_b32 v[vgprValuC+32], acc2 // copy acc to vreg[16]
v_accvgpr_read_b32 v[vgprValuC+33], acc6 // copy acc to vreg[17]
v_accvgpr_read_b32 v[vgprValuC+34], acc10 // copy acc to vreg[18]
v_accvgpr_read_b32 v[vgprValuC+35], acc14 // copy acc to vreg[19]
v_accvgpr_read_b32 v[vgprValuC+36], acc18 // copy acc to vreg[20]
v_accvgpr_read_b32 v[vgprValuC+37], acc22 // copy acc to vreg[21]
v_accvgpr_read_b32 v[vgprValuC+38], acc26 // copy acc to vreg[22]
v_accvgpr_read_b32 v[vgprValuC+39], acc30 // copy acc to vreg[23]
v_accvgpr_read_b32 v[vgprValuC+40], acc3 // copy acc to vreg[24]
v_accvgpr_read_b32 v[vgprValuC+41], acc7 // copy acc to vreg[25]
v_accvgpr_read_b32 v[vgprValuC+42], acc11 // copy acc to vreg[26]
v_accvgpr_read_b32 v[vgprValuC+43], acc15 // copy acc to vreg[27]
v_accvgpr_read_b32 v[vgprValuC+44], acc19 // copy acc to vreg[28]
v_accvgpr_read_b32 v[vgprValuC+45], acc23 // copy acc to vreg[29]
v_accvgpr_read_b32 v[vgprValuC+46], acc27 // copy acc to vreg[30]
v_accvgpr_read_b32 v[vgprValuC+47], acc31 // copy acc to vreg[31]
v_accvgpr_read_b32 v[vgprValuC+48], acc32 // copy acc to vreg[32]
v_accvgpr_read_b32 v[vgprValuC+49], acc36 // copy acc to vreg[33]
v_accvgpr_read_b32 v[vgprValuC+50], acc40 // copy acc to vreg[34]
v_accvgpr_read_b32 v[vgprValuC+51], acc44 // copy acc to vreg[35]
v_accvgpr_read_b32 v[vgprValuC+52], acc48 // copy acc to vreg[36]
v_accvgpr_read_b32 v[vgprValuC+53], acc52 // copy acc to vreg[37]
v_accvgpr_read_b32 v[vgprValuC+54], acc56 // copy acc to vreg[38]
v_accvgpr_read_b32 v[vgprValuC+55], acc60 // copy acc to vreg[39]
v_accvgpr_read_b32 v[vgprValuC+56], acc33 // copy acc to vreg[40]
v_accvgpr_read_b32 v[vgprValuC+57], acc37 // copy acc to vreg[41]
v_accvgpr_read_b32 v[vgprValuC+58], acc41 // copy acc to vreg[42]
v_accvgpr_read_b32 v[vgprValuC+59], acc45 // copy acc to vreg[43]
v_accvgpr_read_b32 v[vgprValuC+60], acc49 // copy acc to vreg[44]
v_accvgpr_read_b32 v[vgprValuC+61], acc53 // copy acc to vreg[45]
v_accvgpr_read_b32 v[vgprValuC+62], acc57 // copy acc to vreg[46]
v_accvgpr_read_b32 v[vgprValuC+63], acc61 // copy acc to vreg[47]
v_accvgpr_read_b32 v[vgprValuC+64], acc34 // copy acc to vreg[48]
v_accvgpr_read_b32 v[vgprValuC+65], acc38 // copy acc to vreg[49]
v_accvgpr_read_b32 v[vgprValuC+66], acc42 // copy acc to vreg[50]
v_accvgpr_read_b32 v[vgprValuC+67], acc46 // copy acc to vreg[51]
v_accvgpr_read_b32 v[vgprValuC+68], acc50 // copy acc to vreg[52]
v_accvgpr_read_b32 v[vgprValuC+69], acc54 // copy acc to vreg[53]
v_accvgpr_read_b32 v[vgprValuC+70], acc58 // copy acc to vreg[54]
v_accvgpr_read_b32 v[vgprValuC+71], acc62 // copy acc to vreg[55]
v_accvgpr_read_b32 v[vgprValuC+72], acc35 // copy acc to vreg[56]
v_accvgpr_read_b32 v[vgprValuC+73], acc39 // copy acc to vreg[57]
v_accvgpr_read_b32 v[vgprValuC+74], acc43 // copy acc to vreg[58]
v_accvgpr_read_b32 v[vgprValuC+75], acc47 // copy acc to vreg[59]
v_accvgpr_read_b32 v[vgprValuC+76], acc51 // copy acc to vreg[60]
v_accvgpr_read_b32 v[vgprValuC+77], acc55 // copy acc to vreg[61]
v_accvgpr_read_b32 v[vgprValuC+78], acc59 // copy acc to vreg[62]
v_accvgpr_read_b32 v[vgprValuC+79], acc63 // copy acc to vreg[63]
v_accvgpr_read_b32 v[vgprValuC+80], acc64 // copy acc to vreg[64]
v_accvgpr_read_b32 v[vgprValuC+81], acc68 // copy acc to vreg[65]
v_accvgpr_read_b32 v[vgprValuC+82], acc72 // copy acc to vreg[66]
v_accvgpr_read_b32 v[vgprValuC+83], acc76 // copy acc to vreg[67]
v_accvgpr_read_b32 v[vgprValuC+84], acc80 // copy acc to vreg[68]
v_accvgpr_read_b32 v[vgprValuC+85], acc84 // copy acc to vreg[69]
v_accvgpr_read_b32 v[vgprValuC+86], acc88 // copy acc to vreg[70]
v_accvgpr_read_b32 v[vgprValuC+87], acc92 // copy acc to vreg[71]
v_accvgpr_read_b32 v[vgprValuC+88], acc65 // copy acc to vreg[72]
v_accvgpr_read_b32 v[vgprValuC+89], acc69 // copy acc to vreg[73]
v_accvgpr_read_b32 v[vgprValuC+90], acc73 // copy acc to vreg[74]
v_accvgpr_read_b32 v[vgprValuC+91], acc77 // copy acc to vreg[75]
v_accvgpr_read_b32 v[vgprValuC+92], acc81 // copy acc to vreg[76]
v_accvgpr_read_b32 v[vgprValuC+93], acc85 // copy acc to vreg[77]
v_accvgpr_read_b32 v[vgprValuC+94], acc89 // copy acc to vreg[78]
v_accvgpr_read_b32 v[vgprValuC+95], acc93 // copy acc to vreg[79]
v_accvgpr_read_b32 v[vgprValuC+96], acc66 // copy acc to vreg[80]
v_accvgpr_read_b32 v[vgprValuC+97], acc70 // copy acc to vreg[81]
v_accvgpr_read_b32 v[vgprValuC+98], acc74 // copy acc to vreg[82]
v_accvgpr_read_b32 v[vgprValuC+99], acc78 // copy acc to vreg[83]
v_accvgpr_read_b32 v[vgprValuC+100], acc82 // copy acc to vreg[84]
v_accvgpr_read_b32 v[vgprValuC+101], acc86 // copy acc to vreg[85]
v_accvgpr_read_b32 v[vgprValuC+102], acc90 // copy acc to vreg[86]
v_accvgpr_read_b32 v[vgprValuC+103], acc94 // copy acc to vreg[87]
v_accvgpr_read_b32 v[vgprValuC+104], acc67 // copy acc to vreg[88]
v_accvgpr_read_b32 v[vgprValuC+105], acc71 // copy acc to vreg[89]
v_accvgpr_read_b32 v[vgprValuC+106], acc75 // copy acc to vreg[90]
v_accvgpr_read_b32 v[vgprValuC+107], acc79 // copy acc to vreg[91]
v_accvgpr_read_b32 v[vgprValuC+108], acc83 // copy acc to vreg[92]
v_accvgpr_read_b32 v[vgprValuC+109], acc87 // copy acc to vreg[93]
v_accvgpr_read_b32 v[vgprValuC+110], acc91 // copy acc to vreg[94]
v_accvgpr_read_b32 v[vgprValuC+111], acc95 // copy acc to vreg[95]
v_accvgpr_read_b32 v[vgprValuC+112], acc96 // copy acc to vreg[96]
v_accvgpr_read_b32 v[vgprValuC+113], acc100 // copy acc to vreg[97]
v_accvgpr_read_b32 v[vgprValuC+114], acc104 // copy acc to vreg[98]
v_accvgpr_read_b32 v[vgprValuC+115], acc108 // copy acc to vreg[99]
v_accvgpr_read_b32 v[vgprValuC+116], acc112 // copy acc to vreg[100]
v_accvgpr_read_b32 v[vgprValuC+117], acc116 // copy acc to vreg[101]
v_accvgpr_read_b32 v[vgprValuC+118], acc120 // copy acc to vreg[102]
v_accvgpr_read_b32 v[vgprValuC+119], acc124 // copy acc to vreg[103]
v_accvgpr_read_b32 v[vgprValuC+120], acc97 // copy acc to vreg[104]
v_accvgpr_read_b32 v[vgprValuC+121], acc101 // copy acc to vreg[105]
v_accvgpr_read_b32 v[vgprValuC+122], acc105 // copy acc to vreg[106]
v_accvgpr_read_b32 v[vgprValuC+123], acc109 // copy acc to vreg[107]
v_accvgpr_read_b32 v[vgprValuC+124], acc113 // copy acc to vreg[108]
v_accvgpr_read_b32 v[vgprValuC+125], acc117 // copy acc to vreg[109]
v_accvgpr_read_b32 v[vgprValuC+126], acc121 // copy acc to vreg[110]
v_accvgpr_read_b32 v[vgprValuC+127], acc125 // copy acc to vreg[111]
v_accvgpr_read_b32 v[vgprValuC+128], acc98 // copy acc to vreg[112]
v_accvgpr_read_b32 v[vgprValuC+129], acc102 // copy acc to vreg[113]
v_accvgpr_read_b32 v[vgprValuC+130], acc106 // copy acc to vreg[114]
v_accvgpr_read_b32 v[vgprValuC+131], acc110 // copy acc to vreg[115]
v_accvgpr_read_b32 v[vgprValuC+132], acc114 // copy acc to vreg[116]
v_accvgpr_read_b32 v[vgprValuC+133], acc118 // copy acc to vreg[117]
v_accvgpr_read_b32 v[vgprValuC+134], acc122 // copy acc to vreg[118]
v_accvgpr_read_b32 v[vgprValuC+135], acc126 // copy acc to vreg[119]
v_accvgpr_read_b32 v[vgprValuC+136], acc99 // copy acc to vreg[120]
v_accvgpr_read_b32 v[vgprValuC+137], acc103 // copy acc to vreg[121]
v_accvgpr_read_b32 v[vgprValuC+138], acc107 // copy acc to vreg[122]
v_accvgpr_read_b32 v[vgprValuC+139], acc111 // copy acc to vreg[123]
v_accvgpr_read_b32 v[vgprValuC+140], acc115 // copy acc to vreg[124]
v_accvgpr_read_b32 v[vgprValuC+141], acc119 // copy acc to vreg[125]
v_accvgpr_read_b32 v[vgprValuC+142], acc123 // copy acc to vreg[126]
v_accvgpr_read_b32 v[vgprValuC+143], acc127 // copy acc to vreg[127]
v_accvgpr_read_b32 v[vgprValuC+144], acc128 // copy acc to vreg[128]
v_accvgpr_read_b32 v[vgprValuC+145], acc132 // copy acc to vreg[129]
v_accvgpr_read_b32 v[vgprValuC+146], acc136 // copy acc to vreg[130]
v_accvgpr_read_b32 v[vgprValuC+147], acc140 // copy acc to vreg[131]
v_accvgpr_read_b32 v[vgprValuC+148], acc144 // copy acc to vreg[132]
v_accvgpr_read_b32 v[vgprValuC+149], acc148 // copy acc to vreg[133]
v_accvgpr_read_b32 v[vgprValuC+150], acc152 // copy acc to vreg[134]
v_accvgpr_read_b32 v[vgprValuC+151], acc156 // copy acc to vreg[135]
v_accvgpr_read_b32 v[vgprValuC+152], acc129 // copy acc to vreg[136]
v_accvgpr_read_b32 v[vgprValuC+153], acc133 // copy acc to vreg[137]
v_accvgpr_read_b32 v[vgprValuC+154], acc137 // copy acc to vreg[138]
v_accvgpr_read_b32 v[vgprValuC+155], acc141 // copy acc to vreg[139]
v_accvgpr_read_b32 v[vgprValuC+156], acc145 // copy acc to vreg[140]
v_accvgpr_read_b32 v[vgprValuC+157], acc149 // copy acc to vreg[141]
v_accvgpr_read_b32 v[vgprValuC+158], acc153 // copy acc to vreg[142]
v_accvgpr_read_b32 v[vgprValuC+159], acc157 // copy acc to vreg[143]
v_accvgpr_read_b32 v[vgprValuC+160], acc130 // copy acc to vreg[144]
v_accvgpr_read_b32 v[vgprValuC+161], acc134 // copy acc to vreg[145]
v_accvgpr_read_b32 v[vgprValuC+162], acc138 // copy acc to vreg[146]
v_accvgpr_read_b32 v[vgprValuC+163], acc142 // copy acc to vreg[147]
v_accvgpr_read_b32 v[vgprValuC+164], acc146 // copy acc to vreg[148]
v_accvgpr_read_b32 v[vgprValuC+165], acc150 // copy acc to vreg[149]
v_accvgpr_read_b32 v[vgprValuC+166], acc154 // copy acc to vreg[150]
v_accvgpr_read_b32 v[vgprValuC+167], acc158 // copy acc to vreg[151]
v_accvgpr_read_b32 v[vgprValuC+168], acc131 // copy acc to vreg[152]
v_accvgpr_read_b32 v[vgprValuC+169], acc135 // copy acc to vreg[153]
v_accvgpr_read_b32 v[vgprValuC+170], acc139 // copy acc to vreg[154]
v_accvgpr_read_b32 v[vgprValuC+171], acc143 // copy acc to vreg[155]
v_accvgpr_read_b32 v[vgprValuC+172], acc147 // copy acc to vreg[156]
v_accvgpr_read_b32 v[vgprValuC+173], acc151 // copy acc to vreg[157]
v_accvgpr_read_b32 v[vgprValuC+174], acc155 // copy acc to vreg[158]
v_accvgpr_read_b32 v[vgprValuC+175], acc159 // copy acc to vreg[159]
v_accvgpr_read_b32 v[vgprValuC+176], acc160 // copy acc to vreg[160]
v_accvgpr_read_b32 v[vgprValuC+177], acc164 // copy acc to vreg[161]
v_accvgpr_read_b32 v[vgprValuC+178], acc168 // copy acc to vreg[162]
v_accvgpr_read_b32 v[vgprValuC+179], acc172 // copy acc to vreg[163]
v_accvgpr_read_b32 v[vgprValuC+180], acc176 // copy acc to vreg[164]
v_accvgpr_read_b32 v[vgprValuC+181], acc180 // copy acc to vreg[165]
v_accvgpr_read_b32 v[vgprValuC+182], acc184 // copy acc to vreg[166]
v_accvgpr_read_b32 v[vgprValuC+183], acc188 // copy acc to vreg[167]
v_accvgpr_read_b32 v[vgprValuC+184], acc161 // copy acc to vreg[168]
v_accvgpr_read_b32 v[vgprValuC+185], acc165 // copy acc to vreg[169]
v_accvgpr_read_b32 v[vgprValuC+186], acc169 // copy acc to vreg[170]
v_accvgpr_read_b32 v[vgprValuC+187], acc173 // copy acc to vreg[171]
v_accvgpr_read_b32 v[vgprValuC+188], acc177 // copy acc to vreg[172]
v_accvgpr_read_b32 v[vgprValuC+189], acc181 // copy acc to vreg[173]
v_accvgpr_read_b32 v[vgprValuC+190], acc185 // copy acc to vreg[174]
v_accvgpr_read_b32 v[vgprValuC+191], acc189 // copy acc to vreg[175]
v_accvgpr_read_b32 v[vgprValuC+192], acc162 // copy acc to vreg[176]
v_accvgpr_read_b32 v[vgprValuC+193], acc166 // copy acc to vreg[177]
v_accvgpr_read_b32 v[vgprValuC+194], acc170 // copy acc to vreg[178]
v_accvgpr_read_b32 v[vgprValuC+195], acc174 // copy acc to vreg[179]
v_accvgpr_read_b32 v[vgprValuC+196], acc178 // copy acc to vreg[180]
v_accvgpr_read_b32 v[vgprValuC+197], acc182 // copy acc to vreg[181]
v_accvgpr_read_b32 v[vgprValuC+198], acc186 // copy acc to vreg[182]
v_accvgpr_read_b32 v[vgprValuC+199], acc190 // copy acc to vreg[183]
v_accvgpr_read_b32 v[vgprValuC+200], acc163 // copy acc to vreg[184]
v_accvgpr_read_b32 v[vgprValuC+201], acc167 // copy acc to vreg[185]
v_accvgpr_read_b32 v[vgprValuC+202], acc171 // copy acc to vreg[186]
v_accvgpr_read_b32 v[vgprValuC+203], acc175 // copy acc to vreg[187]
v_accvgpr_read_b32 v[vgprValuC+204], acc179 // copy acc to vreg[188]
v_accvgpr_read_b32 v[vgprValuC+205], acc183 // copy acc to vreg[189]
v_accvgpr_read_b32 v[vgprValuC+206], acc187 // copy acc to vreg[190]
v_accvgpr_read_b32 v[vgprValuC+207], acc191 // copy acc to vreg[191]
v_accvgpr_read_b32 v[vgprValuC+208], acc192 // copy acc to vreg[192]
v_accvgpr_read_b32 v[vgprValuC+209], acc196 // copy acc to vreg[193]
v_accvgpr_read_b32 v[vgprValuC+210], acc200 // copy acc to vreg[194]
v_accvgpr_read_b32 v[vgprValuC+211], acc204 // copy acc to vreg[195]
v_accvgpr_read_b32 v[vgprValuC+212], acc208 // copy acc to vreg[196]
v_accvgpr_read_b32 v[vgprValuC+213], acc212 // copy acc to vreg[197]
v_accvgpr_read_b32 v[vgprValuC+214], acc216 // copy acc to vreg[198]
v_accvgpr_read_b32 v[vgprValuC+215], acc220 // copy acc to vreg[199]
v_accvgpr_read_b32 v[vgprValuC+216], acc193 // copy acc to vreg[200]
v_accvgpr_read_b32 v[vgprValuC+217], acc197 // copy acc to vreg[201]
v_accvgpr_read_b32 v[vgprValuC+218], acc201 // copy acc to vreg[202]
v_accvgpr_read_b32 v[vgprValuC+219], acc205 // copy acc to vreg[203]
v_accvgpr_read_b32 v[vgprValuC+220], acc209 // copy acc to vreg[204]
v_accvgpr_read_b32 v[vgprValuC+221], acc213 // copy acc to vreg[205]
v_accvgpr_read_b32 v[vgprValuC+222], acc217 // copy acc to vreg[206]
v_accvgpr_read_b32 v[vgprValuC+223], acc221 // copy acc to vreg[207]
v_accvgpr_read_b32 v[vgprValuC+224], acc194 // copy acc to vreg[208]
v_accvgpr_read_b32 v[vgprValuC+225], acc198 // copy acc to vreg[209]
v_accvgpr_read_b32 v[vgprValuC+226], acc202 // copy acc to vreg[210]
v_accvgpr_read_b32 v[vgprValuC+227], acc206 // copy acc to vreg[211]
v_accvgpr_read_b32 v[vgprValuC+228], acc210 // copy acc to vreg[212]
v_accvgpr_read_b32 v[vgprValuC+229], acc214 // copy acc to vreg[213]
v_accvgpr_read_b32 v[vgprValuC+230], acc218 // copy acc to vreg[214]
v_accvgpr_read_b32 v[vgprValuC+231], acc222 // copy acc to vreg[215]
v_accvgpr_read_b32 v[vgprValuC+232], acc195 // copy acc to vreg[216]
v_accvgpr_read_b32 v[vgprValuC+233], acc199 // copy acc to vreg[217]
v_accvgpr_read_b32 v[vgprValuC+234], acc203 // copy acc to vreg[218]
v_accvgpr_read_b32 v[vgprValuC+235], acc207 // copy acc to vreg[219]
v_accvgpr_read_b32 v[vgprValuC+236], acc211 // copy acc to vreg[220]
v_accvgpr_read_b32 v[vgprValuC+237], acc215 // copy acc to vreg[221]
v_accvgpr_read_b32 v[vgprValuC+238], acc219 // copy acc to vreg[222]
v_accvgpr_read_b32 v[vgprValuC+239], acc223 // copy acc to vreg[223]
s_nop 1                                            // 2 wait states required before reading vgpr

/* apply mask, calc new C and issue writes */
v_mov_b32 v10, 0x207                               // flag for Nan and +/- inf
v_mov_b32 v8, 0x47600000                           // save 57344.0f as max for clipping
v_mov_b32 v9, 0xC7600000                           // save -57344`.0f as min for clipping
v_cmp_class_f32 s[54:55], v[vgprValuC+16], v10     // check NaN and +/-INF
v_med3_f32 v6, v[vgprValuC+16], v8, v9             // Clipping f32 value if exceeds the limit
v_cndmask_b32 v6, v6, v[vgprValuC+16], s[54:55]    // 
v_cmp_class_f32 s[54:55], v[vgprValuC+17], v10     // check NaN and +/-INF
v_med3_f32 v7, v[vgprValuC+17], v8, v9             // Clipping f32 value if exceeds the limit
v_cndmask_b32 v7, v7, v[vgprValuC+17], s[54:55]    // 
v_cvt_pk_bf8_f32  v16, v6, v7 op_sel:[0,0,0]       // convert two f32 accumulated values to fp8 and save it to lo_16[0:15]
v_cmp_class_f32 s[54:55], v[vgprValuC+18], v10     // check NaN and +/-INF
v_med3_f32 v6, v[vgprValuC+18], v8, v9             // Clipping f32 value if exceeds the limit
v_cndmask_b32 v6, v6, v[vgprValuC+18], s[54:55]    // 
v_cmp_class_f32 s[54:55], v[vgprValuC+19], v10     // check NaN and +/-INF
v_med3_f32 v7, v[vgprValuC+19], v8, v9             // Clipping f32 value if exceeds the limit
v_cndmask_b32 v7, v7, v[vgprValuC+19], s[54:55]    // 
v_cvt_pk_bf8_f32  v16, v6, v7 op_sel:[0,0,1]       // convert two f32 accumulated values to fp8 and save it to hi_16[16:31]
v_cmp_class_f32 s[54:55], v[vgprValuC+20], v10     // check NaN and +/-INF
v_med3_f32 v6, v[vgprValuC+20], v8, v9             // Clipping f32 value if exceeds the limit
v_cndmask_b32 v6, v6, v[vgprValuC+20], s[54:55]    // 
v_cmp_class_f32 s[54:55], v[vgprValuC+21], v10     // check NaN and +/-INF
v_med3_f32 v7, v[vgprValuC+21], v8, v9             // Clipping f32 value if exceeds the limit
v_cndmask_b32 v7, v7, v[vgprValuC+21], s[54:55]    // 
v_cvt_pk_bf8_f32  v17, v6, v7 op_sel:[0,0,0]       // convert two f32 accumulated values to fp8 and save it to lo_16[0:15]
v_cmp_class_f32 s[54:55], v[vgprValuC+22], v10     // check NaN and +/-INF
v_med3_f32 v6, v[vgprValuC+22], v8, v9             // Clipping f32 value if exceeds the limit
v_cndmask_b32 v6, v6, v[vgprValuC+22], s[54:55]    // 
v_cmp_class_f32 s[54:55], v[vgprValuC+23], v10     // check NaN and +/-INF
v_med3_f32 v7, v[vgprValuC+23], v8, v9             // Clipping f32 value if exceeds the limit
v_cndmask_b32 v7, v7, v[vgprValuC+23], s[54:55]    // 
v_cvt_pk_bf8_f32  v17, v6, v7 op_sel:[0,0,1]       // convert two f32 accumulated values to fp8 and save it to hi_16[16:31]
_buffer_store_b64 v[16:17], v11, s[sgprSrdD:sgprSrdD+3], 0, offen, offset:0,  sc0 sc1 // store D
v_cmp_class_f32 s[54:55], v[vgprValuC+24], v10     // check NaN and +/-INF
v_med3_f32 v6, v[vgprValuC+24], v8, v9             // Clipping f32 value if exceeds the limit
v_cndmask_b32 v6, v6, v[vgprValuC+24], s[54:55]    // 
v_cmp_class_f32 s[54:55], v[vgprValuC+25], v10     // check NaN and +/-INF
v_med3_f32 v7, v[vgprValuC+25], v8, v9             // Clipping f32 value if exceeds the limit
v_cndmask_b32 v7, v7, v[vgprValuC+25], s[54:55]    // 
v_cvt_pk_bf8_f32  v24, v6, v7 op_sel:[0,0,0]       // convert two f32 accumulated values to fp8 and save it to lo_16[0:15]
v_cmp_class_f32 s[54:55], v[vgprValuC+26], v10     // check NaN and +/-INF
v_med3_f32 v6, v[vgprValuC+26], v8, v9             // Clipping f32 value if exceeds the limit
v_cndmask_b32 v6, v6, v[vgprValuC+26], s[54:55]    // 
v_cmp_class_f32 s[54:55], v[vgprValuC+27], v10     // check NaN and +/-INF
v_med3_f32 v7, v[vgprValuC+27], v8, v9             // Clipping f32 value if exceeds the limit
v_cndmask_b32 v7, v7, v[vgprValuC+27], s[54:55]    // 
v_cvt_pk_bf8_f32  v24, v6, v7 op_sel:[0,0,1]       // convert two f32 accumulated values to fp8 and save it to hi_16[16:31]
v_cmp_class_f32 s[54:55], v[vgprValuC+28], v10     // check NaN and +/-INF
v_med3_f32 v6, v[vgprValuC+28], v8, v9             // Clipping f32 value if exceeds the limit
v_cndmask_b32 v6, v6, v[vgprValuC+28], s[54:55]    // 
v_cmp_class_f32 s[54:55], v[vgprValuC+29], v10     // check NaN and +/-INF
v_med3_f32 v7, v[vgprValuC+29], v8, v9             // Clipping f32 value if exceeds the limit
v_cndmask_b32 v7, v7, v[vgprValuC+29], s[54:55]    // 
v_cvt_pk_bf8_f32  v25, v6, v7 op_sel:[0,0,0]       // convert two f32 accumulated values to fp8 and save it to lo_16[0:15]
v_cmp_class_f32 s[54:55], v[vgprValuC+30], v10     // check NaN and +/-INF
v_med3_f32 v6, v[vgprValuC+30], v8, v9             // Clipping f32 value if exceeds the limit
v_cndmask_b32 v6, v6, v[vgprValuC+30], s[54:55]    // 
v_cmp_class_f32 s[54:55], v[vgprValuC+31], v10     // check NaN and +/-INF
v_med3_f32 v7, v[vgprValuC+31], v8, v9             // Clipping f32 value if exceeds the limit
v_cndmask_b32 v7, v7, v[vgprValuC+31], s[54:55]    // 
v_cvt_pk_bf8_f32  v25, v6, v7 op_sel:[0,0,1]       // convert two f32 accumulated values to fp8 and save it to hi_16[16:31]
s_lshl_b32  s54, s[sgprStrideD1J], 0               // incToNextRow: Scale by BPE
s_add_u32  s[sgprSrdD+0], s[sgprSrdD+0], s54       // incToNextRow: gra SRD += inc(lower)
s_addc_u32  s[sgprSrdD+1], s[sgprSrdD+1], 0        // incToNextRow: gra SRD += inc(upper)
_buffer_store_b64 v[24:25], v11, s[sgprSrdD:sgprSrdD+3], 0, offen, offset:0,  sc0 sc1 // store D
v_cmp_class_f32 s[54:55], v[vgprValuC+32], v10     // check NaN and +/-INF
v_med3_f32 v6, v[vgprValuC+32], v8, v9             // Clipping f32 value if exceeds the limit
v_cndmask_b32 v6, v6, v[vgprValuC+32], s[54:55]    // 
v_cmp_class_f32 s[54:55], v[vgprValuC+33], v10     // check NaN and +/-INF
v_med3_f32 v7, v[vgprValuC+33], v8, v9             // Clipping f32 value if exceeds the limit
v_cndmask_b32 v7, v7, v[vgprValuC+33], s[54:55]    // 
v_cvt_pk_bf8_f32  v32, v6, v7 op_sel:[0,0,0]       // convert two f32 accumulated values to fp8 and save it to lo_16[0:15]
v_cmp_class_f32 s[54:55], v[vgprValuC+34], v10     // check NaN and +/-INF
v_med3_f32 v6, v[vgprValuC+34], v8, v9             // Clipping f32 value if exceeds the limit
v_cndmask_b32 v6, v6, v[vgprValuC+34], s[54:55]    // 
v_cmp_class_f32 s[54:55], v[vgprValuC+35], v10     // check NaN and +/-INF
v_med3_f32 v7, v[vgprValuC+35], v8, v9             // Clipping f32 value if exceeds the limit
v_cndmask_b32 v7, v7, v[vgprValuC+35], s[54:55]    // 
v_cvt_pk_bf8_f32  v32, v6, v7 op_sel:[0,0,1]       // convert two f32 accumulated values to fp8 and save it to hi_16[16:31]
v_cmp_class_f32 s[54:55], v[vgprValuC+36], v10     // check NaN and +/-INF
v_med3_f32 v6, v[vgprValuC+36], v8, v9             // Clipping f32 value if exceeds the limit
v_cndmask_b32 v6, v6, v[vgprValuC+36], s[54:55]    // 
v_cmp_class_f32 s[54:55], v[vgprValuC+37], v10     // check NaN and +/-INF
v_med3_f32 v7, v[vgprValuC+37], v8, v9             // Clipping f32 value if exceeds the limit
v_cndmask_b32 v7, v7, v[vgprValuC+37], s[54:55]    // 
v_cvt_pk_bf8_f32  v33, v6, v7 op_sel:[0,0,0]       // convert two f32 accumulated values to fp8 and save it to lo_16[0:15]
v_cmp_class_f32 s[54:55], v[vgprValuC+38], v10     // check NaN and +/-INF
v_med3_f32 v6, v[vgprValuC+38], v8, v9             // Clipping f32 value if exceeds the limit
v_cndmask_b32 v6, v6, v[vgprValuC+38], s[54:55]    // 
v_cmp_class_f32 s[54:55], v[vgprValuC+39], v10     // check NaN and +/-INF
v_med3_f32 v7, v[vgprValuC+39], v8, v9             // Clipping f32 value if exceeds the limit
v_cndmask_b32 v7, v7, v[vgprValuC+39], s[54:55]    // 
v_cvt_pk_bf8_f32  v33, v6, v7 op_sel:[0,0,1]       // convert two f32 accumulated values to fp8 and save it to hi_16[16:31]
s_lshl_b32  s54, s[sgprStrideD1J], 0               // incToNextRow: Scale by BPE
s_add_u32  s[sgprSrdD+0], s[sgprSrdD+0], s54       // incToNextRow: gra SRD += inc(lower)
s_addc_u32  s[sgprSrdD+1], s[sgprSrdD+1], 0        // incToNextRow: gra SRD += inc(upper)
	;; [unrolled: 32-line block ×3, first 2 shown]
_buffer_store_b64 v[40:41], v11, s[sgprSrdD:sgprSrdD+3], 0, offen, offset:0,  sc0 sc1 // store D
v_cmp_class_f32 s[54:55], v[vgprValuC+48], v10     // check NaN and +/-INF
v_med3_f32 v6, v[vgprValuC+48], v8, v9             // Clipping f32 value if exceeds the limit
v_cndmask_b32 v6, v6, v[vgprValuC+48], s[54:55]    // 
v_cmp_class_f32 s[54:55], v[vgprValuC+49], v10     // check NaN and +/-INF
v_med3_f32 v7, v[vgprValuC+49], v8, v9             // Clipping f32 value if exceeds the limit
v_cndmask_b32 v7, v7, v[vgprValuC+49], s[54:55]    // 
v_cvt_pk_bf8_f32  v48, v6, v7 op_sel:[0,0,0]       // convert two f32 accumulated values to fp8 and save it to lo_16[0:15]
v_cmp_class_f32 s[54:55], v[vgprValuC+50], v10     // check NaN and +/-INF
v_med3_f32 v6, v[vgprValuC+50], v8, v9             // Clipping f32 value if exceeds the limit
v_cndmask_b32 v6, v6, v[vgprValuC+50], s[54:55]    // 
v_cmp_class_f32 s[54:55], v[vgprValuC+51], v10     // check NaN and +/-INF
v_med3_f32 v7, v[vgprValuC+51], v8, v9             // Clipping f32 value if exceeds the limit
v_cndmask_b32 v7, v7, v[vgprValuC+51], s[54:55]    // 
v_cvt_pk_bf8_f32  v48, v6, v7 op_sel:[0,0,1]       // convert two f32 accumulated values to fp8 and save it to hi_16[16:31]
v_cmp_class_f32 s[54:55], v[vgprValuC+52], v10     // check NaN and +/-INF
v_med3_f32 v6, v[vgprValuC+52], v8, v9             // Clipping f32 value if exceeds the limit
v_cndmask_b32 v6, v6, v[vgprValuC+52], s[54:55]    // 
v_cmp_class_f32 s[54:55], v[vgprValuC+53], v10     // check NaN and +/-INF
v_med3_f32 v7, v[vgprValuC+53], v8, v9             // Clipping f32 value if exceeds the limit
v_cndmask_b32 v7, v7, v[vgprValuC+53], s[54:55]    // 
v_cvt_pk_bf8_f32  v49, v6, v7 op_sel:[0,0,0]       // convert two f32 accumulated values to fp8 and save it to lo_16[0:15]
v_cmp_class_f32 s[54:55], v[vgprValuC+54], v10     // check NaN and +/-INF
v_med3_f32 v6, v[vgprValuC+54], v8, v9             // Clipping f32 value if exceeds the limit
v_cndmask_b32 v6, v6, v[vgprValuC+54], s[54:55]    // 
v_cmp_class_f32 s[54:55], v[vgprValuC+55], v10     // check NaN and +/-INF
v_med3_f32 v7, v[vgprValuC+55], v8, v9             // Clipping f32 value if exceeds the limit
v_cndmask_b32 v7, v7, v[vgprValuC+55], s[54:55]    // 
v_cvt_pk_bf8_f32  v49, v6, v7 op_sel:[0,0,1]       // convert two f32 accumulated values to fp8 and save it to hi_16[16:31]
s_mul_i32 s54, s[sgprStrideD1J], 29                // scale StrideD *= numRows(29) * bpe
s_add_u32  s[sgprSrdD+0], s[sgprSrdD+0], s54       // incToNextRow: gra SRD += inc(lower)
s_addc_u32  s[sgprSrdD+1], s[sgprSrdD+1], 0        // incToNextRow: gra SRD += inc(upper)
_buffer_store_b64 v[48:49], v11, s[sgprSrdD:sgprSrdD+3], 0, offen, offset:0,  sc0 sc1 // store D
v_cmp_class_f32 s[54:55], v[vgprValuC+56], v10     // check NaN and +/-INF
v_med3_f32 v6, v[vgprValuC+56], v8, v9             // Clipping f32 value if exceeds the limit
v_cndmask_b32 v6, v6, v[vgprValuC+56], s[54:55]    // 
v_cmp_class_f32 s[54:55], v[vgprValuC+57], v10     // check NaN and +/-INF
v_med3_f32 v7, v[vgprValuC+57], v8, v9             // Clipping f32 value if exceeds the limit
v_cndmask_b32 v7, v7, v[vgprValuC+57], s[54:55]    // 
v_cvt_pk_bf8_f32  v56, v6, v7 op_sel:[0,0,0]       // convert two f32 accumulated values to fp8 and save it to lo_16[0:15]
v_cmp_class_f32 s[54:55], v[vgprValuC+58], v10     // check NaN and +/-INF
v_med3_f32 v6, v[vgprValuC+58], v8, v9             // Clipping f32 value if exceeds the limit
v_cndmask_b32 v6, v6, v[vgprValuC+58], s[54:55]    // 
v_cmp_class_f32 s[54:55], v[vgprValuC+59], v10     // check NaN and +/-INF
v_med3_f32 v7, v[vgprValuC+59], v8, v9             // Clipping f32 value if exceeds the limit
v_cndmask_b32 v7, v7, v[vgprValuC+59], s[54:55]    // 
v_cvt_pk_bf8_f32  v56, v6, v7 op_sel:[0,0,1]       // convert two f32 accumulated values to fp8 and save it to hi_16[16:31]
v_cmp_class_f32 s[54:55], v[vgprValuC+60], v10     // check NaN and +/-INF
v_med3_f32 v6, v[vgprValuC+60], v8, v9             // Clipping f32 value if exceeds the limit
v_cndmask_b32 v6, v6, v[vgprValuC+60], s[54:55]    // 
v_cmp_class_f32 s[54:55], v[vgprValuC+61], v10     // check NaN and +/-INF
v_med3_f32 v7, v[vgprValuC+61], v8, v9             // Clipping f32 value if exceeds the limit
v_cndmask_b32 v7, v7, v[vgprValuC+61], s[54:55]    // 
v_cvt_pk_bf8_f32  v57, v6, v7 op_sel:[0,0,0]       // convert two f32 accumulated values to fp8 and save it to lo_16[0:15]
v_cmp_class_f32 s[54:55], v[vgprValuC+62], v10     // check NaN and +/-INF
v_med3_f32 v6, v[vgprValuC+62], v8, v9             // Clipping f32 value if exceeds the limit
v_cndmask_b32 v6, v6, v[vgprValuC+62], s[54:55]    // 
v_cmp_class_f32 s[54:55], v[vgprValuC+63], v10     // check NaN and +/-INF
v_med3_f32 v7, v[vgprValuC+63], v8, v9             // Clipping f32 value if exceeds the limit
v_cndmask_b32 v7, v7, v[vgprValuC+63], s[54:55]    // 
v_cvt_pk_bf8_f32  v57, v6, v7 op_sel:[0,0,1]       // convert two f32 accumulated values to fp8 and save it to hi_16[16:31]
s_lshl_b32  s54, s[sgprStrideD1J], 0               // incToNextRow: Scale by BPE
s_add_u32  s[sgprSrdD+0], s[sgprSrdD+0], s54       // incToNextRow: gra SRD += inc(lower)
s_addc_u32  s[sgprSrdD+1], s[sgprSrdD+1], 0        // incToNextRow: gra SRD += inc(upper)
_buffer_store_b64 v[56:57], v11, s[sgprSrdD:sgprSrdD+3], 0, offen, offset:0,  sc0 sc1 // store D
v_cmp_class_f32 s[54:55], v[vgprValuC+64], v10     // check NaN and +/-INF
v_med3_f32 v6, v[vgprValuC+64], v8, v9             // Clipping f32 value if exceeds the limit
v_cndmask_b32 v6, v6, v[vgprValuC+64], s[54:55]    // 
v_cmp_class_f32 s[54:55], v[vgprValuC+65], v10     // check NaN and +/-INF
v_med3_f32 v7, v[vgprValuC+65], v8, v9             // Clipping f32 value if exceeds the limit
v_cndmask_b32 v7, v7, v[vgprValuC+65], s[54:55]    // 
v_cvt_pk_bf8_f32  v64, v6, v7 op_sel:[0,0,0]       // convert two f32 accumulated values to fp8 and save it to lo_16[0:15]
v_cmp_class_f32 s[54:55], v[vgprValuC+66], v10     // check NaN and +/-INF
v_med3_f32 v6, v[vgprValuC+66], v8, v9             // Clipping f32 value if exceeds the limit
v_cndmask_b32 v6, v6, v[vgprValuC+66], s[54:55]    // 
v_cmp_class_f32 s[54:55], v[vgprValuC+67], v10     // check NaN and +/-INF
v_med3_f32 v7, v[vgprValuC+67], v8, v9             // Clipping f32 value if exceeds the limit
v_cndmask_b32 v7, v7, v[vgprValuC+67], s[54:55]    // 
v_cvt_pk_bf8_f32  v64, v6, v7 op_sel:[0,0,1]       // convert two f32 accumulated values to fp8 and save it to hi_16[16:31]
v_cmp_class_f32 s[54:55], v[vgprValuC+68], v10     // check NaN and +/-INF
v_med3_f32 v6, v[vgprValuC+68], v8, v9             // Clipping f32 value if exceeds the limit
v_cndmask_b32 v6, v6, v[vgprValuC+68], s[54:55]    // 
v_cmp_class_f32 s[54:55], v[vgprValuC+69], v10     // check NaN and +/-INF
v_med3_f32 v7, v[vgprValuC+69], v8, v9             // Clipping f32 value if exceeds the limit
v_cndmask_b32 v7, v7, v[vgprValuC+69], s[54:55]    // 
v_cvt_pk_bf8_f32  v65, v6, v7 op_sel:[0,0,0]       // convert two f32 accumulated values to fp8 and save it to lo_16[0:15]
v_cmp_class_f32 s[54:55], v[vgprValuC+70], v10     // check NaN and +/-INF
v_med3_f32 v6, v[vgprValuC+70], v8, v9             // Clipping f32 value if exceeds the limit
v_cndmask_b32 v6, v6, v[vgprValuC+70], s[54:55]    // 
v_cmp_class_f32 s[54:55], v[vgprValuC+71], v10     // check NaN and +/-INF
v_med3_f32 v7, v[vgprValuC+71], v8, v9             // Clipping f32 value if exceeds the limit
v_cndmask_b32 v7, v7, v[vgprValuC+71], s[54:55]    // 
v_cvt_pk_bf8_f32  v65, v6, v7 op_sel:[0,0,1]       // convert two f32 accumulated values to fp8 and save it to hi_16[16:31]
s_lshl_b32  s54, s[sgprStrideD1J], 0               // incToNextRow: Scale by BPE
	;; [unrolled: 32-line block ×3, first 2 shown]
s_add_u32  s[sgprSrdD+0], s[sgprSrdD+0], s54       // incToNextRow: gra SRD += inc(lower)
s_addc_u32  s[sgprSrdD+1], s[sgprSrdD+1], 0        // incToNextRow: gra SRD += inc(upper)
_buffer_store_b64 v[72:73], v11, s[sgprSrdD:sgprSrdD+3], 0, offen, offset:0,  sc0 sc1 // store D
v_cmp_class_f32 s[54:55], v[vgprValuC+80], v10     // check NaN and +/-INF
v_med3_f32 v6, v[vgprValuC+80], v8, v9             // Clipping f32 value if exceeds the limit
v_cndmask_b32 v6, v6, v[vgprValuC+80], s[54:55]    // 
v_cmp_class_f32 s[54:55], v[vgprValuC+81], v10     // check NaN and +/-INF
v_med3_f32 v7, v[vgprValuC+81], v8, v9             // Clipping f32 value if exceeds the limit
v_cndmask_b32 v7, v7, v[vgprValuC+81], s[54:55]    // 
v_cvt_pk_bf8_f32  v80, v6, v7 op_sel:[0,0,0]       // convert two f32 accumulated values to fp8 and save it to lo_16[0:15]
v_cmp_class_f32 s[54:55], v[vgprValuC+82], v10     // check NaN and +/-INF
v_med3_f32 v6, v[vgprValuC+82], v8, v9             // Clipping f32 value if exceeds the limit
v_cndmask_b32 v6, v6, v[vgprValuC+82], s[54:55]    // 
v_cmp_class_f32 s[54:55], v[vgprValuC+83], v10     // check NaN and +/-INF
v_med3_f32 v7, v[vgprValuC+83], v8, v9             // Clipping f32 value if exceeds the limit
v_cndmask_b32 v7, v7, v[vgprValuC+83], s[54:55]    // 
v_cvt_pk_bf8_f32  v80, v6, v7 op_sel:[0,0,1]       // convert two f32 accumulated values to fp8 and save it to hi_16[16:31]
v_cmp_class_f32 s[54:55], v[vgprValuC+84], v10     // check NaN and +/-INF
v_med3_f32 v6, v[vgprValuC+84], v8, v9             // Clipping f32 value if exceeds the limit
v_cndmask_b32 v6, v6, v[vgprValuC+84], s[54:55]    // 
v_cmp_class_f32 s[54:55], v[vgprValuC+85], v10     // check NaN and +/-INF
v_med3_f32 v7, v[vgprValuC+85], v8, v9             // Clipping f32 value if exceeds the limit
v_cndmask_b32 v7, v7, v[vgprValuC+85], s[54:55]    // 
v_cvt_pk_bf8_f32  v81, v6, v7 op_sel:[0,0,0]       // convert two f32 accumulated values to fp8 and save it to lo_16[0:15]
v_cmp_class_f32 s[54:55], v[vgprValuC+86], v10     // check NaN and +/-INF
v_med3_f32 v6, v[vgprValuC+86], v8, v9             // Clipping f32 value if exceeds the limit
v_cndmask_b32 v6, v6, v[vgprValuC+86], s[54:55]    // 
v_cmp_class_f32 s[54:55], v[vgprValuC+87], v10     // check NaN and +/-INF
v_med3_f32 v7, v[vgprValuC+87], v8, v9             // Clipping f32 value if exceeds the limit
v_cndmask_b32 v7, v7, v[vgprValuC+87], s[54:55]    // 
v_cvt_pk_bf8_f32  v81, v6, v7 op_sel:[0,0,1]       // convert two f32 accumulated values to fp8 and save it to hi_16[16:31]
s_mul_i32 s54, s[sgprStrideD1J], 29                // scale StrideD *= numRows(29) * bpe
s_add_u32  s[sgprSrdD+0], s[sgprSrdD+0], s54       // incToNextRow: gra SRD += inc(lower)
s_addc_u32  s[sgprSrdD+1], s[sgprSrdD+1], 0        // incToNextRow: gra SRD += inc(upper)
_buffer_store_b64 v[80:81], v11, s[sgprSrdD:sgprSrdD+3], 0, offen, offset:0,  sc0 sc1 // store D
v_cmp_class_f32 s[54:55], v[vgprValuC+88], v10     // check NaN and +/-INF
v_med3_f32 v6, v[vgprValuC+88], v8, v9             // Clipping f32 value if exceeds the limit
v_cndmask_b32 v6, v6, v[vgprValuC+88], s[54:55]    // 
v_cmp_class_f32 s[54:55], v[vgprValuC+89], v10     // check NaN and +/-INF
v_med3_f32 v7, v[vgprValuC+89], v8, v9             // Clipping f32 value if exceeds the limit
v_cndmask_b32 v7, v7, v[vgprValuC+89], s[54:55]    // 
v_cvt_pk_bf8_f32  v88, v6, v7 op_sel:[0,0,0]       // convert two f32 accumulated values to fp8 and save it to lo_16[0:15]
v_cmp_class_f32 s[54:55], v[vgprValuC+90], v10     // check NaN and +/-INF
v_med3_f32 v6, v[vgprValuC+90], v8, v9             // Clipping f32 value if exceeds the limit
v_cndmask_b32 v6, v6, v[vgprValuC+90], s[54:55]    // 
v_cmp_class_f32 s[54:55], v[vgprValuC+91], v10     // check NaN and +/-INF
v_med3_f32 v7, v[vgprValuC+91], v8, v9             // Clipping f32 value if exceeds the limit
v_cndmask_b32 v7, v7, v[vgprValuC+91], s[54:55]    // 
v_cvt_pk_bf8_f32  v88, v6, v7 op_sel:[0,0,1]       // convert two f32 accumulated values to fp8 and save it to hi_16[16:31]
v_cmp_class_f32 s[54:55], v[vgprValuC+92], v10     // check NaN and +/-INF
v_med3_f32 v6, v[vgprValuC+92], v8, v9             // Clipping f32 value if exceeds the limit
v_cndmask_b32 v6, v6, v[vgprValuC+92], s[54:55]    // 
v_cmp_class_f32 s[54:55], v[vgprValuC+93], v10     // check NaN and +/-INF
v_med3_f32 v7, v[vgprValuC+93], v8, v9             // Clipping f32 value if exceeds the limit
v_cndmask_b32 v7, v7, v[vgprValuC+93], s[54:55]    // 
v_cvt_pk_bf8_f32  v89, v6, v7 op_sel:[0,0,0]       // convert two f32 accumulated values to fp8 and save it to lo_16[0:15]
v_cmp_class_f32 s[54:55], v[vgprValuC+94], v10     // check NaN and +/-INF
v_med3_f32 v6, v[vgprValuC+94], v8, v9             // Clipping f32 value if exceeds the limit
v_cndmask_b32 v6, v6, v[vgprValuC+94], s[54:55]    // 
v_cmp_class_f32 s[54:55], v[vgprValuC+95], v10     // check NaN and +/-INF
v_med3_f32 v7, v[vgprValuC+95], v8, v9             // Clipping f32 value if exceeds the limit
v_cndmask_b32 v7, v7, v[vgprValuC+95], s[54:55]    // 
v_cvt_pk_bf8_f32  v89, v6, v7 op_sel:[0,0,1]       // convert two f32 accumulated values to fp8 and save it to hi_16[16:31]
s_lshl_b32  s54, s[sgprStrideD1J], 0               // incToNextRow: Scale by BPE
s_add_u32  s[sgprSrdD+0], s[sgprSrdD+0], s54       // incToNextRow: gra SRD += inc(lower)
s_addc_u32  s[sgprSrdD+1], s[sgprSrdD+1], 0        // incToNextRow: gra SRD += inc(upper)
_buffer_store_b64 v[88:89], v11, s[sgprSrdD:sgprSrdD+3], 0, offen, offset:0,  sc0 sc1 // store D
v_cmp_class_f32 s[54:55], v[vgprValuC+96], v10     // check NaN and +/-INF
v_med3_f32 v6, v[vgprValuC+96], v8, v9             // Clipping f32 value if exceeds the limit
v_cndmask_b32 v6, v6, v[vgprValuC+96], s[54:55]    // 
v_cmp_class_f32 s[54:55], v[vgprValuC+97], v10     // check NaN and +/-INF
v_med3_f32 v7, v[vgprValuC+97], v8, v9             // Clipping f32 value if exceeds the limit
v_cndmask_b32 v7, v7, v[vgprValuC+97], s[54:55]    // 
v_cvt_pk_bf8_f32  v96, v6, v7 op_sel:[0,0,0]       // convert two f32 accumulated values to fp8 and save it to lo_16[0:15]
v_cmp_class_f32 s[54:55], v[vgprValuC+98], v10     // check NaN and +/-INF
v_med3_f32 v6, v[vgprValuC+98], v8, v9             // Clipping f32 value if exceeds the limit
v_cndmask_b32 v6, v6, v[vgprValuC+98], s[54:55]    // 
v_cmp_class_f32 s[54:55], v[vgprValuC+99], v10     // check NaN and +/-INF
v_med3_f32 v7, v[vgprValuC+99], v8, v9             // Clipping f32 value if exceeds the limit
v_cndmask_b32 v7, v7, v[vgprValuC+99], s[54:55]    // 
v_cvt_pk_bf8_f32  v96, v6, v7 op_sel:[0,0,1]       // convert two f32 accumulated values to fp8 and save it to hi_16[16:31]
v_cmp_class_f32 s[54:55], v[vgprValuC+100], v10    // check NaN and +/-INF
v_med3_f32 v6, v[vgprValuC+100], v8, v9            // Clipping f32 value if exceeds the limit
v_cndmask_b32 v6, v6, v[vgprValuC+100], s[54:55]   // 
v_cmp_class_f32 s[54:55], v[vgprValuC+101], v10    // check NaN and +/-INF
v_med3_f32 v7, v[vgprValuC+101], v8, v9            // Clipping f32 value if exceeds the limit
v_cndmask_b32 v7, v7, v[vgprValuC+101], s[54:55]   // 
v_cvt_pk_bf8_f32  v97, v6, v7 op_sel:[0,0,0]       // convert two f32 accumulated values to fp8 and save it to lo_16[0:15]
v_cmp_class_f32 s[54:55], v[vgprValuC+102], v10    // check NaN and +/-INF
v_med3_f32 v6, v[vgprValuC+102], v8, v9            // Clipping f32 value if exceeds the limit
v_cndmask_b32 v6, v6, v[vgprValuC+102], s[54:55]   // 
v_cmp_class_f32 s[54:55], v[vgprValuC+103], v10    // check NaN and +/-INF
v_med3_f32 v7, v[vgprValuC+103], v8, v9            // Clipping f32 value if exceeds the limit
v_cndmask_b32 v7, v7, v[vgprValuC+103], s[54:55]   // 
v_cvt_pk_bf8_f32  v97, v6, v7 op_sel:[0,0,1]       // convert two f32 accumulated values to fp8 and save it to hi_16[16:31]
s_lshl_b32  s54, s[sgprStrideD1J], 0               // incToNextRow: Scale by BPE
s_add_u32  s[sgprSrdD+0], s[sgprSrdD+0], s54       // incToNextRow: gra SRD += inc(lower)
s_addc_u32  s[sgprSrdD+1], s[sgprSrdD+1], 0        // incToNextRow: gra SRD += inc(upper)
_buffer_store_b64 v[96:97], v11, s[sgprSrdD:sgprSrdD+3], 0, offen, offset:0,  sc0 sc1 // store D
v_cmp_class_f32 s[54:55], v[vgprValuC+104], v10    // check NaN and +/-INF
v_med3_f32 v6, v[vgprValuC+104], v8, v9            // Clipping f32 value if exceeds the limit
v_cndmask_b32 v6, v6, v[vgprValuC+104], s[54:55]   // 
v_cmp_class_f32 s[54:55], v[vgprValuC+105], v10    // check NaN and +/-INF
v_med3_f32 v7, v[vgprValuC+105], v8, v9            // Clipping f32 value if exceeds the limit
v_cndmask_b32 v7, v7, v[vgprValuC+105], s[54:55]   // 
v_cvt_pk_bf8_f32  v104, v6, v7 op_sel:[0,0,0]      // convert two f32 accumulated values to fp8 and save it to lo_16[0:15]
v_cmp_class_f32 s[54:55], v[vgprValuC+106], v10    // check NaN and +/-INF
v_med3_f32 v6, v[vgprValuC+106], v8, v9            // Clipping f32 value if exceeds the limit
v_cndmask_b32 v6, v6, v[vgprValuC+106], s[54:55]   // 
v_cmp_class_f32 s[54:55], v[vgprValuC+107], v10    // check NaN and +/-INF
v_med3_f32 v7, v[vgprValuC+107], v8, v9            // Clipping f32 value if exceeds the limit
v_cndmask_b32 v7, v7, v[vgprValuC+107], s[54:55]   // 
v_cvt_pk_bf8_f32  v104, v6, v7 op_sel:[0,0,1]      // convert two f32 accumulated values to fp8 and save it to hi_16[16:31]
v_cmp_class_f32 s[54:55], v[vgprValuC+108], v10    // check NaN and +/-INF
v_med3_f32 v6, v[vgprValuC+108], v8, v9            // Clipping f32 value if exceeds the limit
v_cndmask_b32 v6, v6, v[vgprValuC+108], s[54:55]   // 
v_cmp_class_f32 s[54:55], v[vgprValuC+109], v10    // check NaN and +/-INF
v_med3_f32 v7, v[vgprValuC+109], v8, v9            // Clipping f32 value if exceeds the limit
v_cndmask_b32 v7, v7, v[vgprValuC+109], s[54:55]   // 
v_cvt_pk_bf8_f32  v105, v6, v7 op_sel:[0,0,0]      // convert two f32 accumulated values to fp8 and save it to lo_16[0:15]
v_cmp_class_f32 s[54:55], v[vgprValuC+110], v10    // check NaN and +/-INF
v_med3_f32 v6, v[vgprValuC+110], v8, v9            // Clipping f32 value if exceeds the limit
v_cndmask_b32 v6, v6, v[vgprValuC+110], s[54:55]   // 
v_cmp_class_f32 s[54:55], v[vgprValuC+111], v10    // check NaN and +/-INF
v_med3_f32 v7, v[vgprValuC+111], v8, v9            // Clipping f32 value if exceeds the limit
v_cndmask_b32 v7, v7, v[vgprValuC+111], s[54:55]   // 
v_cvt_pk_bf8_f32  v105, v6, v7 op_sel:[0,0,1]      // convert two f32 accumulated values to fp8 and save it to hi_16[16:31]
s_lshl_b32  s54, s[sgprStrideD1J], 0               // incToNextRow: Scale by BPE
s_add_u32  s[sgprSrdD+0], s[sgprSrdD+0], s54       // incToNextRow: gra SRD += inc(lower)
s_addc_u32  s[sgprSrdD+1], s[sgprSrdD+1], 0        // incToNextRow: gra SRD += inc(upper)
_buffer_store_b64 v[104:105], v11, s[sgprSrdD:sgprSrdD+3], 0, offen, offset:0,  sc0 sc1 // store D
v_cmp_class_f32 s[54:55], v[vgprValuC+112], v10    // check NaN and +/-INF
v_med3_f32 v6, v[vgprValuC+112], v8, v9            // Clipping f32 value if exceeds the limit
v_cndmask_b32 v6, v6, v[vgprValuC+112], s[54:55]   // 
v_cmp_class_f32 s[54:55], v[vgprValuC+113], v10    // check NaN and +/-INF
v_med3_f32 v7, v[vgprValuC+113], v8, v9            // Clipping f32 value if exceeds the limit
v_cndmask_b32 v7, v7, v[vgprValuC+113], s[54:55]   // 
v_cvt_pk_bf8_f32  v112, v6, v7 op_sel:[0,0,0]      // convert two f32 accumulated values to fp8 and save it to lo_16[0:15]
v_cmp_class_f32 s[54:55], v[vgprValuC+114], v10    // check NaN and +/-INF
v_med3_f32 v6, v[vgprValuC+114], v8, v9            // Clipping f32 value if exceeds the limit
v_cndmask_b32 v6, v6, v[vgprValuC+114], s[54:55]   // 
v_cmp_class_f32 s[54:55], v[vgprValuC+115], v10    // check NaN and +/-INF
v_med3_f32 v7, v[vgprValuC+115], v8, v9            // Clipping f32 value if exceeds the limit
v_cndmask_b32 v7, v7, v[vgprValuC+115], s[54:55]   // 
v_cvt_pk_bf8_f32  v112, v6, v7 op_sel:[0,0,1]      // convert two f32 accumulated values to fp8 and save it to hi_16[16:31]
v_cmp_class_f32 s[54:55], v[vgprValuC+116], v10    // check NaN and +/-INF
v_med3_f32 v6, v[vgprValuC+116], v8, v9            // Clipping f32 value if exceeds the limit
v_cndmask_b32 v6, v6, v[vgprValuC+116], s[54:55]   // 
v_cmp_class_f32 s[54:55], v[vgprValuC+117], v10    // check NaN and +/-INF
v_med3_f32 v7, v[vgprValuC+117], v8, v9            // Clipping f32 value if exceeds the limit
v_cndmask_b32 v7, v7, v[vgprValuC+117], s[54:55]   // 
v_cvt_pk_bf8_f32  v113, v6, v7 op_sel:[0,0,0]      // convert two f32 accumulated values to fp8 and save it to lo_16[0:15]
v_cmp_class_f32 s[54:55], v[vgprValuC+118], v10    // check NaN and +/-INF
v_med3_f32 v6, v[vgprValuC+118], v8, v9            // Clipping f32 value if exceeds the limit
v_cndmask_b32 v6, v6, v[vgprValuC+118], s[54:55]   // 
v_cmp_class_f32 s[54:55], v[vgprValuC+119], v10    // check NaN and +/-INF
v_med3_f32 v7, v[vgprValuC+119], v8, v9            // Clipping f32 value if exceeds the limit
v_cndmask_b32 v7, v7, v[vgprValuC+119], s[54:55]   // 
v_cvt_pk_bf8_f32  v113, v6, v7 op_sel:[0,0,1]      // convert two f32 accumulated values to fp8 and save it to hi_16[16:31]
s_mul_i32 s54, s[sgprStrideD1J], 29                // scale StrideD *= numRows(29) * bpe
s_add_u32  s[sgprSrdD+0], s[sgprSrdD+0], s54       // incToNextRow: gra SRD += inc(lower)
s_addc_u32  s[sgprSrdD+1], s[sgprSrdD+1], 0        // incToNextRow: gra SRD += inc(upper)
_buffer_store_b64 v[112:113], v11, s[sgprSrdD:sgprSrdD+3], 0, offen, offset:0,  sc0 sc1 // store D
v_cmp_class_f32 s[54:55], v[vgprValuC+120], v10    // check NaN and +/-INF
v_med3_f32 v6, v[vgprValuC+120], v8, v9            // Clipping f32 value if exceeds the limit
v_cndmask_b32 v6, v6, v[vgprValuC+120], s[54:55]   // 
v_cmp_class_f32 s[54:55], v[vgprValuC+121], v10    // check NaN and +/-INF
v_med3_f32 v7, v[vgprValuC+121], v8, v9            // Clipping f32 value if exceeds the limit
v_cndmask_b32 v7, v7, v[vgprValuC+121], s[54:55]   // 
v_cvt_pk_bf8_f32  v120, v6, v7 op_sel:[0,0,0]      // convert two f32 accumulated values to fp8 and save it to lo_16[0:15]
v_cmp_class_f32 s[54:55], v[vgprValuC+122], v10    // check NaN and +/-INF
v_med3_f32 v6, v[vgprValuC+122], v8, v9            // Clipping f32 value if exceeds the limit
v_cndmask_b32 v6, v6, v[vgprValuC+122], s[54:55]   // 
v_cmp_class_f32 s[54:55], v[vgprValuC+123], v10    // check NaN and +/-INF
v_med3_f32 v7, v[vgprValuC+123], v8, v9            // Clipping f32 value if exceeds the limit
v_cndmask_b32 v7, v7, v[vgprValuC+123], s[54:55]   // 
v_cvt_pk_bf8_f32  v120, v6, v7 op_sel:[0,0,1]      // convert two f32 accumulated values to fp8 and save it to hi_16[16:31]
v_cmp_class_f32 s[54:55], v[vgprValuC+124], v10    // check NaN and +/-INF
v_med3_f32 v6, v[vgprValuC+124], v8, v9            // Clipping f32 value if exceeds the limit
v_cndmask_b32 v6, v6, v[vgprValuC+124], s[54:55]   // 
v_cmp_class_f32 s[54:55], v[vgprValuC+125], v10    // check NaN and +/-INF
v_med3_f32 v7, v[vgprValuC+125], v8, v9            // Clipping f32 value if exceeds the limit
v_cndmask_b32 v7, v7, v[vgprValuC+125], s[54:55]   // 
v_cvt_pk_bf8_f32  v121, v6, v7 op_sel:[0,0,0]      // convert two f32 accumulated values to fp8 and save it to lo_16[0:15]
v_cmp_class_f32 s[54:55], v[vgprValuC+126], v10    // check NaN and +/-INF
v_med3_f32 v6, v[vgprValuC+126], v8, v9            // Clipping f32 value if exceeds the limit
v_cndmask_b32 v6, v6, v[vgprValuC+126], s[54:55]   // 
v_cmp_class_f32 s[54:55], v[vgprValuC+127], v10    // check NaN and +/-INF
v_med3_f32 v7, v[vgprValuC+127], v8, v9            // Clipping f32 value if exceeds the limit
v_cndmask_b32 v7, v7, v[vgprValuC+127], s[54:55]   // 
v_cvt_pk_bf8_f32  v121, v6, v7 op_sel:[0,0,1]      // convert two f32 accumulated values to fp8 and save it to hi_16[16:31]
s_lshl_b32  s54, s[sgprStrideD1J], 0               // incToNextRow: Scale by BPE
s_add_u32  s[sgprSrdD+0], s[sgprSrdD+0], s54       // incToNextRow: gra SRD += inc(lower)
s_addc_u32  s[sgprSrdD+1], s[sgprSrdD+1], 0        // incToNextRow: gra SRD += inc(upper)
_buffer_store_b64 v[120:121], v11, s[sgprSrdD:sgprSrdD+3], 0, offen, offset:0,  sc0 sc1 // store D
v_cmp_class_f32 s[54:55], v[vgprValuC+128], v10    // check NaN and +/-INF
v_med3_f32 v6, v[vgprValuC+128], v8, v9            // Clipping f32 value if exceeds the limit
v_cndmask_b32 v6, v6, v[vgprValuC+128], s[54:55]   // 
v_cmp_class_f32 s[54:55], v[vgprValuC+129], v10    // check NaN and +/-INF
v_med3_f32 v7, v[vgprValuC+129], v8, v9            // Clipping f32 value if exceeds the limit
v_cndmask_b32 v7, v7, v[vgprValuC+129], s[54:55]   // 
v_cvt_pk_bf8_f32  v128, v6, v7 op_sel:[0,0,0]      // convert two f32 accumulated values to fp8 and save it to lo_16[0:15]
v_cmp_class_f32 s[54:55], v[vgprValuC+130], v10    // check NaN and +/-INF
v_med3_f32 v6, v[vgprValuC+130], v8, v9            // Clipping f32 value if exceeds the limit
v_cndmask_b32 v6, v6, v[vgprValuC+130], s[54:55]   // 
v_cmp_class_f32 s[54:55], v[vgprValuC+131], v10    // check NaN and +/-INF
v_med3_f32 v7, v[vgprValuC+131], v8, v9            // Clipping f32 value if exceeds the limit
v_cndmask_b32 v7, v7, v[vgprValuC+131], s[54:55]   // 
v_cvt_pk_bf8_f32  v128, v6, v7 op_sel:[0,0,1]      // convert two f32 accumulated values to fp8 and save it to hi_16[16:31]
v_cmp_class_f32 s[54:55], v[vgprValuC+132], v10    // check NaN and +/-INF
v_med3_f32 v6, v[vgprValuC+132], v8, v9            // Clipping f32 value if exceeds the limit
v_cndmask_b32 v6, v6, v[vgprValuC+132], s[54:55]   // 
v_cmp_class_f32 s[54:55], v[vgprValuC+133], v10    // check NaN and +/-INF
v_med3_f32 v7, v[vgprValuC+133], v8, v9            // Clipping f32 value if exceeds the limit
v_cndmask_b32 v7, v7, v[vgprValuC+133], s[54:55]   // 
v_cvt_pk_bf8_f32  v129, v6, v7 op_sel:[0,0,0]      // convert two f32 accumulated values to fp8 and save it to lo_16[0:15]
v_cmp_class_f32 s[54:55], v[vgprValuC+134], v10    // check NaN and +/-INF
v_med3_f32 v6, v[vgprValuC+134], v8, v9            // Clipping f32 value if exceeds the limit
v_cndmask_b32 v6, v6, v[vgprValuC+134], s[54:55]   // 
v_cmp_class_f32 s[54:55], v[vgprValuC+135], v10    // check NaN and +/-INF
v_med3_f32 v7, v[vgprValuC+135], v8, v9            // Clipping f32 value if exceeds the limit
v_cndmask_b32 v7, v7, v[vgprValuC+135], s[54:55]   // 
v_cvt_pk_bf8_f32  v129, v6, v7 op_sel:[0,0,1]      // convert two f32 accumulated values to fp8 and save it to hi_16[16:31]
s_lshl_b32  s54, s[sgprStrideD1J], 0               // incToNextRow: Scale by BPE
	;; [unrolled: 32-line block ×3, first 2 shown]
s_add_u32  s[sgprSrdD+0], s[sgprSrdD+0], s54       // incToNextRow: gra SRD += inc(lower)
s_addc_u32  s[sgprSrdD+1], s[sgprSrdD+1], 0        // incToNextRow: gra SRD += inc(upper)
_buffer_store_b64 v[136:137], v11, s[sgprSrdD:sgprSrdD+3], 0, offen, offset:0,  sc0 sc1 // store D
v_cmp_class_f32 s[54:55], v[vgprValuC+144], v10    // check NaN and +/-INF
v_med3_f32 v6, v[vgprValuC+144], v8, v9            // Clipping f32 value if exceeds the limit
v_cndmask_b32 v6, v6, v[vgprValuC+144], s[54:55]   // 
v_cmp_class_f32 s[54:55], v[vgprValuC+145], v10    // check NaN and +/-INF
v_med3_f32 v7, v[vgprValuC+145], v8, v9            // Clipping f32 value if exceeds the limit
v_cndmask_b32 v7, v7, v[vgprValuC+145], s[54:55]   // 
v_cvt_pk_bf8_f32  v144, v6, v7 op_sel:[0,0,0]      // convert two f32 accumulated values to fp8 and save it to lo_16[0:15]
v_cmp_class_f32 s[54:55], v[vgprValuC+146], v10    // check NaN and +/-INF
v_med3_f32 v6, v[vgprValuC+146], v8, v9            // Clipping f32 value if exceeds the limit
v_cndmask_b32 v6, v6, v[vgprValuC+146], s[54:55]   // 
v_cmp_class_f32 s[54:55], v[vgprValuC+147], v10    // check NaN and +/-INF
v_med3_f32 v7, v[vgprValuC+147], v8, v9            // Clipping f32 value if exceeds the limit
v_cndmask_b32 v7, v7, v[vgprValuC+147], s[54:55]   // 
v_cvt_pk_bf8_f32  v144, v6, v7 op_sel:[0,0,1]      // convert two f32 accumulated values to fp8 and save it to hi_16[16:31]
v_cmp_class_f32 s[54:55], v[vgprValuC+148], v10    // check NaN and +/-INF
v_med3_f32 v6, v[vgprValuC+148], v8, v9            // Clipping f32 value if exceeds the limit
v_cndmask_b32 v6, v6, v[vgprValuC+148], s[54:55]   // 
v_cmp_class_f32 s[54:55], v[vgprValuC+149], v10    // check NaN and +/-INF
v_med3_f32 v7, v[vgprValuC+149], v8, v9            // Clipping f32 value if exceeds the limit
v_cndmask_b32 v7, v7, v[vgprValuC+149], s[54:55]   // 
v_cvt_pk_bf8_f32  v145, v6, v7 op_sel:[0,0,0]      // convert two f32 accumulated values to fp8 and save it to lo_16[0:15]
v_cmp_class_f32 s[54:55], v[vgprValuC+150], v10    // check NaN and +/-INF
v_med3_f32 v6, v[vgprValuC+150], v8, v9            // Clipping f32 value if exceeds the limit
v_cndmask_b32 v6, v6, v[vgprValuC+150], s[54:55]   // 
v_cmp_class_f32 s[54:55], v[vgprValuC+151], v10    // check NaN and +/-INF
v_med3_f32 v7, v[vgprValuC+151], v8, v9            // Clipping f32 value if exceeds the limit
v_cndmask_b32 v7, v7, v[vgprValuC+151], s[54:55]   // 
v_cvt_pk_bf8_f32  v145, v6, v7 op_sel:[0,0,1]      // convert two f32 accumulated values to fp8 and save it to hi_16[16:31]
s_mul_i32 s54, s[sgprStrideD1J], 29                // scale StrideD *= numRows(29) * bpe
s_add_u32  s[sgprSrdD+0], s[sgprSrdD+0], s54       // incToNextRow: gra SRD += inc(lower)
s_addc_u32  s[sgprSrdD+1], s[sgprSrdD+1], 0        // incToNextRow: gra SRD += inc(upper)
_buffer_store_b64 v[144:145], v11, s[sgprSrdD:sgprSrdD+3], 0, offen, offset:0,  sc0 sc1 // store D
v_cmp_class_f32 s[54:55], v[vgprValuC+152], v10    // check NaN and +/-INF
v_med3_f32 v6, v[vgprValuC+152], v8, v9            // Clipping f32 value if exceeds the limit
v_cndmask_b32 v6, v6, v[vgprValuC+152], s[54:55]   // 
v_cmp_class_f32 s[54:55], v[vgprValuC+153], v10    // check NaN and +/-INF
v_med3_f32 v7, v[vgprValuC+153], v8, v9            // Clipping f32 value if exceeds the limit
v_cndmask_b32 v7, v7, v[vgprValuC+153], s[54:55]   // 
v_cvt_pk_bf8_f32  v152, v6, v7 op_sel:[0,0,0]      // convert two f32 accumulated values to fp8 and save it to lo_16[0:15]
v_cmp_class_f32 s[54:55], v[vgprValuC+154], v10    // check NaN and +/-INF
v_med3_f32 v6, v[vgprValuC+154], v8, v9            // Clipping f32 value if exceeds the limit
v_cndmask_b32 v6, v6, v[vgprValuC+154], s[54:55]   // 
v_cmp_class_f32 s[54:55], v[vgprValuC+155], v10    // check NaN and +/-INF
v_med3_f32 v7, v[vgprValuC+155], v8, v9            // Clipping f32 value if exceeds the limit
v_cndmask_b32 v7, v7, v[vgprValuC+155], s[54:55]   // 
v_cvt_pk_bf8_f32  v152, v6, v7 op_sel:[0,0,1]      // convert two f32 accumulated values to fp8 and save it to hi_16[16:31]
v_cmp_class_f32 s[54:55], v[vgprValuC+156], v10    // check NaN and +/-INF
v_med3_f32 v6, v[vgprValuC+156], v8, v9            // Clipping f32 value if exceeds the limit
v_cndmask_b32 v6, v6, v[vgprValuC+156], s[54:55]   // 
v_cmp_class_f32 s[54:55], v[vgprValuC+157], v10    // check NaN and +/-INF
v_med3_f32 v7, v[vgprValuC+157], v8, v9            // Clipping f32 value if exceeds the limit
v_cndmask_b32 v7, v7, v[vgprValuC+157], s[54:55]   // 
v_cvt_pk_bf8_f32  v153, v6, v7 op_sel:[0,0,0]      // convert two f32 accumulated values to fp8 and save it to lo_16[0:15]
v_cmp_class_f32 s[54:55], v[vgprValuC+158], v10    // check NaN and +/-INF
v_med3_f32 v6, v[vgprValuC+158], v8, v9            // Clipping f32 value if exceeds the limit
v_cndmask_b32 v6, v6, v[vgprValuC+158], s[54:55]   // 
v_cmp_class_f32 s[54:55], v[vgprValuC+159], v10    // check NaN and +/-INF
v_med3_f32 v7, v[vgprValuC+159], v8, v9            // Clipping f32 value if exceeds the limit
v_cndmask_b32 v7, v7, v[vgprValuC+159], s[54:55]   // 
v_cvt_pk_bf8_f32  v153, v6, v7 op_sel:[0,0,1]      // convert two f32 accumulated values to fp8 and save it to hi_16[16:31]
s_lshl_b32  s54, s[sgprStrideD1J], 0               // incToNextRow: Scale by BPE
s_add_u32  s[sgprSrdD+0], s[sgprSrdD+0], s54       // incToNextRow: gra SRD += inc(lower)
s_addc_u32  s[sgprSrdD+1], s[sgprSrdD+1], 0        // incToNextRow: gra SRD += inc(upper)
_buffer_store_b64 v[152:153], v11, s[sgprSrdD:sgprSrdD+3], 0, offen, offset:0,  sc0 sc1 // store D
v_cmp_class_f32 s[54:55], v[vgprValuC+160], v10    // check NaN and +/-INF
v_med3_f32 v6, v[vgprValuC+160], v8, v9            // Clipping f32 value if exceeds the limit
v_cndmask_b32 v6, v6, v[vgprValuC+160], s[54:55]   // 
v_cmp_class_f32 s[54:55], v[vgprValuC+161], v10    // check NaN and +/-INF
v_med3_f32 v7, v[vgprValuC+161], v8, v9            // Clipping f32 value if exceeds the limit
v_cndmask_b32 v7, v7, v[vgprValuC+161], s[54:55]   // 
v_cvt_pk_bf8_f32  v160, v6, v7 op_sel:[0,0,0]      // convert two f32 accumulated values to fp8 and save it to lo_16[0:15]
v_cmp_class_f32 s[54:55], v[vgprValuC+162], v10    // check NaN and +/-INF
v_med3_f32 v6, v[vgprValuC+162], v8, v9            // Clipping f32 value if exceeds the limit
v_cndmask_b32 v6, v6, v[vgprValuC+162], s[54:55]   // 
v_cmp_class_f32 s[54:55], v[vgprValuC+163], v10    // check NaN and +/-INF
v_med3_f32 v7, v[vgprValuC+163], v8, v9            // Clipping f32 value if exceeds the limit
v_cndmask_b32 v7, v7, v[vgprValuC+163], s[54:55]   // 
v_cvt_pk_bf8_f32  v160, v6, v7 op_sel:[0,0,1]      // convert two f32 accumulated values to fp8 and save it to hi_16[16:31]
v_cmp_class_f32 s[54:55], v[vgprValuC+164], v10    // check NaN and +/-INF
v_med3_f32 v6, v[vgprValuC+164], v8, v9            // Clipping f32 value if exceeds the limit
v_cndmask_b32 v6, v6, v[vgprValuC+164], s[54:55]   // 
v_cmp_class_f32 s[54:55], v[vgprValuC+165], v10    // check NaN and +/-INF
v_med3_f32 v7, v[vgprValuC+165], v8, v9            // Clipping f32 value if exceeds the limit
v_cndmask_b32 v7, v7, v[vgprValuC+165], s[54:55]   // 
v_cvt_pk_bf8_f32  v161, v6, v7 op_sel:[0,0,0]      // convert two f32 accumulated values to fp8 and save it to lo_16[0:15]
v_cmp_class_f32 s[54:55], v[vgprValuC+166], v10    // check NaN and +/-INF
v_med3_f32 v6, v[vgprValuC+166], v8, v9            // Clipping f32 value if exceeds the limit
v_cndmask_b32 v6, v6, v[vgprValuC+166], s[54:55]   // 
v_cmp_class_f32 s[54:55], v[vgprValuC+167], v10    // check NaN and +/-INF
v_med3_f32 v7, v[vgprValuC+167], v8, v9            // Clipping f32 value if exceeds the limit
v_cndmask_b32 v7, v7, v[vgprValuC+167], s[54:55]   // 
v_cvt_pk_bf8_f32  v161, v6, v7 op_sel:[0,0,1]      // convert two f32 accumulated values to fp8 and save it to hi_16[16:31]
s_lshl_b32  s54, s[sgprStrideD1J], 0               // incToNextRow: Scale by BPE
	;; [unrolled: 32-line block ×3, first 2 shown]
s_add_u32  s[sgprSrdD+0], s[sgprSrdD+0], s54       // incToNextRow: gra SRD += inc(lower)
s_addc_u32  s[sgprSrdD+1], s[sgprSrdD+1], 0        // incToNextRow: gra SRD += inc(upper)
_buffer_store_b64 v[168:169], v11, s[sgprSrdD:sgprSrdD+3], 0, offen, offset:0,  sc0 sc1 // store D
v_cmp_class_f32 s[54:55], v[vgprValuC+176], v10    // check NaN and +/-INF
v_med3_f32 v6, v[vgprValuC+176], v8, v9            // Clipping f32 value if exceeds the limit
v_cndmask_b32 v6, v6, v[vgprValuC+176], s[54:55]   // 
v_cmp_class_f32 s[54:55], v[vgprValuC+177], v10    // check NaN and +/-INF
v_med3_f32 v7, v[vgprValuC+177], v8, v9            // Clipping f32 value if exceeds the limit
v_cndmask_b32 v7, v7, v[vgprValuC+177], s[54:55]   // 
v_cvt_pk_bf8_f32  v176, v6, v7 op_sel:[0,0,0]      // convert two f32 accumulated values to fp8 and save it to lo_16[0:15]
v_cmp_class_f32 s[54:55], v[vgprValuC+178], v10    // check NaN and +/-INF
v_med3_f32 v6, v[vgprValuC+178], v8, v9            // Clipping f32 value if exceeds the limit
v_cndmask_b32 v6, v6, v[vgprValuC+178], s[54:55]   // 
v_cmp_class_f32 s[54:55], v[vgprValuC+179], v10    // check NaN and +/-INF
v_med3_f32 v7, v[vgprValuC+179], v8, v9            // Clipping f32 value if exceeds the limit
v_cndmask_b32 v7, v7, v[vgprValuC+179], s[54:55]   // 
v_cvt_pk_bf8_f32  v176, v6, v7 op_sel:[0,0,1]      // convert two f32 accumulated values to fp8 and save it to hi_16[16:31]
v_cmp_class_f32 s[54:55], v[vgprValuC+180], v10    // check NaN and +/-INF
v_med3_f32 v6, v[vgprValuC+180], v8, v9            // Clipping f32 value if exceeds the limit
v_cndmask_b32 v6, v6, v[vgprValuC+180], s[54:55]   // 
v_cmp_class_f32 s[54:55], v[vgprValuC+181], v10    // check NaN and +/-INF
v_med3_f32 v7, v[vgprValuC+181], v8, v9            // Clipping f32 value if exceeds the limit
v_cndmask_b32 v7, v7, v[vgprValuC+181], s[54:55]   // 
v_cvt_pk_bf8_f32  v177, v6, v7 op_sel:[0,0,0]      // convert two f32 accumulated values to fp8 and save it to lo_16[0:15]
v_cmp_class_f32 s[54:55], v[vgprValuC+182], v10    // check NaN and +/-INF
v_med3_f32 v6, v[vgprValuC+182], v8, v9            // Clipping f32 value if exceeds the limit
v_cndmask_b32 v6, v6, v[vgprValuC+182], s[54:55]   // 
v_cmp_class_f32 s[54:55], v[vgprValuC+183], v10    // check NaN and +/-INF
v_med3_f32 v7, v[vgprValuC+183], v8, v9            // Clipping f32 value if exceeds the limit
v_cndmask_b32 v7, v7, v[vgprValuC+183], s[54:55]   // 
v_cvt_pk_bf8_f32  v177, v6, v7 op_sel:[0,0,1]      // convert two f32 accumulated values to fp8 and save it to hi_16[16:31]
s_mul_i32 s54, s[sgprStrideD1J], 29                // scale StrideD *= numRows(29) * bpe
s_add_u32  s[sgprSrdD+0], s[sgprSrdD+0], s54       // incToNextRow: gra SRD += inc(lower)
s_addc_u32  s[sgprSrdD+1], s[sgprSrdD+1], 0        // incToNextRow: gra SRD += inc(upper)
_buffer_store_b64 v[176:177], v11, s[sgprSrdD:sgprSrdD+3], 0, offen, offset:0,  sc0 sc1 // store D
v_cmp_class_f32 s[54:55], v[vgprValuC+184], v10    // check NaN and +/-INF
v_med3_f32 v6, v[vgprValuC+184], v8, v9            // Clipping f32 value if exceeds the limit
v_cndmask_b32 v6, v6, v[vgprValuC+184], s[54:55]   // 
v_cmp_class_f32 s[54:55], v[vgprValuC+185], v10    // check NaN and +/-INF
v_med3_f32 v7, v[vgprValuC+185], v8, v9            // Clipping f32 value if exceeds the limit
v_cndmask_b32 v7, v7, v[vgprValuC+185], s[54:55]   // 
v_cvt_pk_bf8_f32  v184, v6, v7 op_sel:[0,0,0]      // convert two f32 accumulated values to fp8 and save it to lo_16[0:15]
v_cmp_class_f32 s[54:55], v[vgprValuC+186], v10    // check NaN and +/-INF
v_med3_f32 v6, v[vgprValuC+186], v8, v9            // Clipping f32 value if exceeds the limit
v_cndmask_b32 v6, v6, v[vgprValuC+186], s[54:55]   // 
v_cmp_class_f32 s[54:55], v[vgprValuC+187], v10    // check NaN and +/-INF
v_med3_f32 v7, v[vgprValuC+187], v8, v9            // Clipping f32 value if exceeds the limit
v_cndmask_b32 v7, v7, v[vgprValuC+187], s[54:55]   // 
v_cvt_pk_bf8_f32  v184, v6, v7 op_sel:[0,0,1]      // convert two f32 accumulated values to fp8 and save it to hi_16[16:31]
v_cmp_class_f32 s[54:55], v[vgprValuC+188], v10    // check NaN and +/-INF
v_med3_f32 v6, v[vgprValuC+188], v8, v9            // Clipping f32 value if exceeds the limit
v_cndmask_b32 v6, v6, v[vgprValuC+188], s[54:55]   // 
v_cmp_class_f32 s[54:55], v[vgprValuC+189], v10    // check NaN and +/-INF
v_med3_f32 v7, v[vgprValuC+189], v8, v9            // Clipping f32 value if exceeds the limit
v_cndmask_b32 v7, v7, v[vgprValuC+189], s[54:55]   // 
v_cvt_pk_bf8_f32  v185, v6, v7 op_sel:[0,0,0]      // convert two f32 accumulated values to fp8 and save it to lo_16[0:15]
v_cmp_class_f32 s[54:55], v[vgprValuC+190], v10    // check NaN and +/-INF
v_med3_f32 v6, v[vgprValuC+190], v8, v9            // Clipping f32 value if exceeds the limit
v_cndmask_b32 v6, v6, v[vgprValuC+190], s[54:55]   // 
v_cmp_class_f32 s[54:55], v[vgprValuC+191], v10    // check NaN and +/-INF
v_med3_f32 v7, v[vgprValuC+191], v8, v9            // Clipping f32 value if exceeds the limit
v_cndmask_b32 v7, v7, v[vgprValuC+191], s[54:55]   // 
v_cvt_pk_bf8_f32  v185, v6, v7 op_sel:[0,0,1]      // convert two f32 accumulated values to fp8 and save it to hi_16[16:31]
s_lshl_b32  s54, s[sgprStrideD1J], 0               // incToNextRow: Scale by BPE
s_add_u32  s[sgprSrdD+0], s[sgprSrdD+0], s54       // incToNextRow: gra SRD += inc(lower)
s_addc_u32  s[sgprSrdD+1], s[sgprSrdD+1], 0        // incToNextRow: gra SRD += inc(upper)
_buffer_store_b64 v[184:185], v11, s[sgprSrdD:sgprSrdD+3], 0, offen, offset:0,  sc0 sc1 // store D
v_cmp_class_f32 s[54:55], v[vgprValuC+192], v10    // check NaN and +/-INF
v_med3_f32 v6, v[vgprValuC+192], v8, v9            // Clipping f32 value if exceeds the limit
v_cndmask_b32 v6, v6, v[vgprValuC+192], s[54:55]   // 
v_cmp_class_f32 s[54:55], v[vgprValuC+193], v10    // check NaN and +/-INF
v_med3_f32 v7, v[vgprValuC+193], v8, v9            // Clipping f32 value if exceeds the limit
v_cndmask_b32 v7, v7, v[vgprValuC+193], s[54:55]   // 
v_cvt_pk_bf8_f32  v192, v6, v7 op_sel:[0,0,0]      // convert two f32 accumulated values to fp8 and save it to lo_16[0:15]
v_cmp_class_f32 s[54:55], v[vgprValuC+194], v10    // check NaN and +/-INF
v_med3_f32 v6, v[vgprValuC+194], v8, v9            // Clipping f32 value if exceeds the limit
v_cndmask_b32 v6, v6, v[vgprValuC+194], s[54:55]   // 
v_cmp_class_f32 s[54:55], v[vgprValuC+195], v10    // check NaN and +/-INF
v_med3_f32 v7, v[vgprValuC+195], v8, v9            // Clipping f32 value if exceeds the limit
v_cndmask_b32 v7, v7, v[vgprValuC+195], s[54:55]   // 
v_cvt_pk_bf8_f32  v192, v6, v7 op_sel:[0,0,1]      // convert two f32 accumulated values to fp8 and save it to hi_16[16:31]
v_cmp_class_f32 s[54:55], v[vgprValuC+196], v10    // check NaN and +/-INF
v_med3_f32 v6, v[vgprValuC+196], v8, v9            // Clipping f32 value if exceeds the limit
v_cndmask_b32 v6, v6, v[vgprValuC+196], s[54:55]   // 
v_cmp_class_f32 s[54:55], v[vgprValuC+197], v10    // check NaN and +/-INF
v_med3_f32 v7, v[vgprValuC+197], v8, v9            // Clipping f32 value if exceeds the limit
v_cndmask_b32 v7, v7, v[vgprValuC+197], s[54:55]   // 
v_cvt_pk_bf8_f32  v193, v6, v7 op_sel:[0,0,0]      // convert two f32 accumulated values to fp8 and save it to lo_16[0:15]
v_cmp_class_f32 s[54:55], v[vgprValuC+198], v10    // check NaN and +/-INF
v_med3_f32 v6, v[vgprValuC+198], v8, v9            // Clipping f32 value if exceeds the limit
v_cndmask_b32 v6, v6, v[vgprValuC+198], s[54:55]   // 
v_cmp_class_f32 s[54:55], v[vgprValuC+199], v10    // check NaN and +/-INF
v_med3_f32 v7, v[vgprValuC+199], v8, v9            // Clipping f32 value if exceeds the limit
v_cndmask_b32 v7, v7, v[vgprValuC+199], s[54:55]   // 
v_cvt_pk_bf8_f32  v193, v6, v7 op_sel:[0,0,1]      // convert two f32 accumulated values to fp8 and save it to hi_16[16:31]
s_lshl_b32  s54, s[sgprStrideD1J], 0               // incToNextRow: Scale by BPE
	;; [unrolled: 32-line block ×3, first 2 shown]
s_add_u32  s[sgprSrdD+0], s[sgprSrdD+0], s54       // incToNextRow: gra SRD += inc(lower)
s_addc_u32  s[sgprSrdD+1], s[sgprSrdD+1], 0        // incToNextRow: gra SRD += inc(upper)
_buffer_store_b64 v[200:201], v11, s[sgprSrdD:sgprSrdD+3], 0, offen, offset:0,  sc0 sc1 // store D
v_cmp_class_f32 s[54:55], v[vgprValuC+208], v10    // check NaN and +/-INF
v_med3_f32 v6, v[vgprValuC+208], v8, v9            // Clipping f32 value if exceeds the limit
v_cndmask_b32 v6, v6, v[vgprValuC+208], s[54:55]   // 
v_cmp_class_f32 s[54:55], v[vgprValuC+209], v10    // check NaN and +/-INF
v_med3_f32 v7, v[vgprValuC+209], v8, v9            // Clipping f32 value if exceeds the limit
v_cndmask_b32 v7, v7, v[vgprValuC+209], s[54:55]   // 
v_cvt_pk_bf8_f32  v208, v6, v7 op_sel:[0,0,0]      // convert two f32 accumulated values to fp8 and save it to lo_16[0:15]
v_cmp_class_f32 s[54:55], v[vgprValuC+210], v10    // check NaN and +/-INF
v_med3_f32 v6, v[vgprValuC+210], v8, v9            // Clipping f32 value if exceeds the limit
v_cndmask_b32 v6, v6, v[vgprValuC+210], s[54:55]   // 
v_cmp_class_f32 s[54:55], v[vgprValuC+211], v10    // check NaN and +/-INF
v_med3_f32 v7, v[vgprValuC+211], v8, v9            // Clipping f32 value if exceeds the limit
v_cndmask_b32 v7, v7, v[vgprValuC+211], s[54:55]   // 
v_cvt_pk_bf8_f32  v208, v6, v7 op_sel:[0,0,1]      // convert two f32 accumulated values to fp8 and save it to hi_16[16:31]
v_cmp_class_f32 s[54:55], v[vgprValuC+212], v10    // check NaN and +/-INF
v_med3_f32 v6, v[vgprValuC+212], v8, v9            // Clipping f32 value if exceeds the limit
v_cndmask_b32 v6, v6, v[vgprValuC+212], s[54:55]   // 
v_cmp_class_f32 s[54:55], v[vgprValuC+213], v10    // check NaN and +/-INF
v_med3_f32 v7, v[vgprValuC+213], v8, v9            // Clipping f32 value if exceeds the limit
v_cndmask_b32 v7, v7, v[vgprValuC+213], s[54:55]   // 
v_cvt_pk_bf8_f32  v209, v6, v7 op_sel:[0,0,0]      // convert two f32 accumulated values to fp8 and save it to lo_16[0:15]
v_cmp_class_f32 s[54:55], v[vgprValuC+214], v10    // check NaN and +/-INF
v_med3_f32 v6, v[vgprValuC+214], v8, v9            // Clipping f32 value if exceeds the limit
v_cndmask_b32 v6, v6, v[vgprValuC+214], s[54:55]   // 
v_cmp_class_f32 s[54:55], v[vgprValuC+215], v10    // check NaN and +/-INF
v_med3_f32 v7, v[vgprValuC+215], v8, v9            // Clipping f32 value if exceeds the limit
v_cndmask_b32 v7, v7, v[vgprValuC+215], s[54:55]   // 
v_cvt_pk_bf8_f32  v209, v6, v7 op_sel:[0,0,1]      // convert two f32 accumulated values to fp8 and save it to hi_16[16:31]
s_mul_i32 s54, s[sgprStrideD1J], 29                // scale StrideD *= numRows(29) * bpe
s_add_u32  s[sgprSrdD+0], s[sgprSrdD+0], s54       // incToNextRow: gra SRD += inc(lower)
s_addc_u32  s[sgprSrdD+1], s[sgprSrdD+1], 0        // incToNextRow: gra SRD += inc(upper)
_buffer_store_b64 v[208:209], v11, s[sgprSrdD:sgprSrdD+3], 0, offen, offset:0,  sc0 sc1 // store D
v_cmp_class_f32 s[54:55], v[vgprValuC+216], v10    // check NaN and +/-INF
v_med3_f32 v6, v[vgprValuC+216], v8, v9            // Clipping f32 value if exceeds the limit
v_cndmask_b32 v6, v6, v[vgprValuC+216], s[54:55]   // 
v_cmp_class_f32 s[54:55], v[vgprValuC+217], v10    // check NaN and +/-INF
v_med3_f32 v7, v[vgprValuC+217], v8, v9            // Clipping f32 value if exceeds the limit
v_cndmask_b32 v7, v7, v[vgprValuC+217], s[54:55]   // 
v_cvt_pk_bf8_f32  v216, v6, v7 op_sel:[0,0,0]      // convert two f32 accumulated values to fp8 and save it to lo_16[0:15]
v_cmp_class_f32 s[54:55], v[vgprValuC+218], v10    // check NaN and +/-INF
v_med3_f32 v6, v[vgprValuC+218], v8, v9            // Clipping f32 value if exceeds the limit
v_cndmask_b32 v6, v6, v[vgprValuC+218], s[54:55]   // 
v_cmp_class_f32 s[54:55], v[vgprValuC+219], v10    // check NaN and +/-INF
v_med3_f32 v7, v[vgprValuC+219], v8, v9            // Clipping f32 value if exceeds the limit
v_cndmask_b32 v7, v7, v[vgprValuC+219], s[54:55]   // 
v_cvt_pk_bf8_f32  v216, v6, v7 op_sel:[0,0,1]      // convert two f32 accumulated values to fp8 and save it to hi_16[16:31]
v_cmp_class_f32 s[54:55], v[vgprValuC+220], v10    // check NaN and +/-INF
v_med3_f32 v6, v[vgprValuC+220], v8, v9            // Clipping f32 value if exceeds the limit
v_cndmask_b32 v6, v6, v[vgprValuC+220], s[54:55]   // 
v_cmp_class_f32 s[54:55], v[vgprValuC+221], v10    // check NaN and +/-INF
v_med3_f32 v7, v[vgprValuC+221], v8, v9            // Clipping f32 value if exceeds the limit
v_cndmask_b32 v7, v7, v[vgprValuC+221], s[54:55]   // 
v_cvt_pk_bf8_f32  v217, v6, v7 op_sel:[0,0,0]      // convert two f32 accumulated values to fp8 and save it to lo_16[0:15]
v_cmp_class_f32 s[54:55], v[vgprValuC+222], v10    // check NaN and +/-INF
v_med3_f32 v6, v[vgprValuC+222], v8, v9            // Clipping f32 value if exceeds the limit
v_cndmask_b32 v6, v6, v[vgprValuC+222], s[54:55]   // 
v_cmp_class_f32 s[54:55], v[vgprValuC+223], v10    // check NaN and +/-INF
v_med3_f32 v7, v[vgprValuC+223], v8, v9            // Clipping f32 value if exceeds the limit
v_cndmask_b32 v7, v7, v[vgprValuC+223], s[54:55]   // 
v_cvt_pk_bf8_f32  v217, v6, v7 op_sel:[0,0,1]      // convert two f32 accumulated values to fp8 and save it to hi_16[16:31]
s_lshl_b32  s54, s[sgprStrideD1J], 0               // incToNextRow: Scale by BPE
s_add_u32  s[sgprSrdD+0], s[sgprSrdD+0], s54       // incToNextRow: gra SRD += inc(lower)
s_addc_u32  s[sgprSrdD+1], s[sgprSrdD+1], 0        // incToNextRow: gra SRD += inc(upper)
_buffer_store_b64 v[216:217], v11, s[sgprSrdD:sgprSrdD+3], 0, offen, offset:0,  sc0 sc1 // store D
v_cmp_class_f32 s[54:55], v[vgprValuC+224], v10    // check NaN and +/-INF
v_med3_f32 v6, v[vgprValuC+224], v8, v9            // Clipping f32 value if exceeds the limit
v_cndmask_b32 v6, v6, v[vgprValuC+224], s[54:55]   // 
v_cmp_class_f32 s[54:55], v[vgprValuC+225], v10    // check NaN and +/-INF
v_med3_f32 v7, v[vgprValuC+225], v8, v9            // Clipping f32 value if exceeds the limit
v_cndmask_b32 v7, v7, v[vgprValuC+225], s[54:55]   // 
v_cvt_pk_bf8_f32  v224, v6, v7 op_sel:[0,0,0]      // convert two f32 accumulated values to fp8 and save it to lo_16[0:15]
v_cmp_class_f32 s[54:55], v[vgprValuC+226], v10    // check NaN and +/-INF
v_med3_f32 v6, v[vgprValuC+226], v8, v9            // Clipping f32 value if exceeds the limit
v_cndmask_b32 v6, v6, v[vgprValuC+226], s[54:55]   // 
v_cmp_class_f32 s[54:55], v[vgprValuC+227], v10    // check NaN and +/-INF
v_med3_f32 v7, v[vgprValuC+227], v8, v9            // Clipping f32 value if exceeds the limit
v_cndmask_b32 v7, v7, v[vgprValuC+227], s[54:55]   // 
v_cvt_pk_bf8_f32  v224, v6, v7 op_sel:[0,0,1]      // convert two f32 accumulated values to fp8 and save it to hi_16[16:31]
v_cmp_class_f32 s[54:55], v[vgprValuC+228], v10    // check NaN and +/-INF
v_med3_f32 v6, v[vgprValuC+228], v8, v9            // Clipping f32 value if exceeds the limit
v_cndmask_b32 v6, v6, v[vgprValuC+228], s[54:55]   // 
v_cmp_class_f32 s[54:55], v[vgprValuC+229], v10    // check NaN and +/-INF
v_med3_f32 v7, v[vgprValuC+229], v8, v9            // Clipping f32 value if exceeds the limit
v_cndmask_b32 v7, v7, v[vgprValuC+229], s[54:55]   // 
v_cvt_pk_bf8_f32  v225, v6, v7 op_sel:[0,0,0]      // convert two f32 accumulated values to fp8 and save it to lo_16[0:15]
v_cmp_class_f32 s[54:55], v[vgprValuC+230], v10    // check NaN and +/-INF
v_med3_f32 v6, v[vgprValuC+230], v8, v9            // Clipping f32 value if exceeds the limit
v_cndmask_b32 v6, v6, v[vgprValuC+230], s[54:55]   // 
v_cmp_class_f32 s[54:55], v[vgprValuC+231], v10    // check NaN and +/-INF
v_med3_f32 v7, v[vgprValuC+231], v8, v9            // Clipping f32 value if exceeds the limit
v_cndmask_b32 v7, v7, v[vgprValuC+231], s[54:55]   // 
v_cvt_pk_bf8_f32  v225, v6, v7 op_sel:[0,0,1]      // convert two f32 accumulated values to fp8 and save it to hi_16[16:31]
s_lshl_b32  s54, s[sgprStrideD1J], 0               // incToNextRow: Scale by BPE
	;; [unrolled: 32-line block ×3, first 2 shown]
s_add_u32  s[sgprSrdD+0], s[sgprSrdD+0], s54       // incToNextRow: gra SRD += inc(lower)
s_addc_u32  s[sgprSrdD+1], s[sgprSrdD+1], 0        // incToNextRow: gra SRD += inc(upper)
_buffer_store_b64 v[232:233], v11, s[sgprSrdD:sgprSrdD+3], 0, offen, offset:0,  sc0 sc1 // store D
s_nop 0                                            // 1 wait state required when next inst writes vgprs held by previous dwordx4 store inst
s_branch label_GW_End_23                           // jump to end
label_GW_End_23:

s_endpgm                                           // Kernel End
OptNLL_End_17:


/******************************************/
/* Ord. NoLoadLoop - Begin                                      */
/******************************************/


	;; [unrolled: 1-line block ×4, first 2 shown]
/* iter 0 (last unrolled loop) */

/*  grEndMfmaIndex:0, lwStartMfmaIndex:198, lwEndMfmaIndex:198  */
/*  numMfmaForLR:20, barrierMfmaIndex:203, LocalWritePerMfma:0.405 */
/*  mfmaIndex:0  */
s_waitcnt lgkmcnt(0)                               // lgkmcnt=0 vmcnt=-1wait for prior local read local write old=0, new=0 newLW=0 newLR=0
v_mfma_f32_16x16x32_bf8_bf8 a[0+0:3+0], v[vgprValuB_X0_I0+0+0+0:vgprValuB_X0_I0+0+0+0+1], v[vgprValuA_X0_I0+0+0+0:vgprValuA_X0_I0+0+0+0+1], a[0:3]
/*  mfmaIndex:1  */
_ds_load_b64 v[vgprValuA_X1_I0+0:vgprValuA_X1_I0+0+1], v[vgprLocalReadAddrA] offset:32 // L -> Reg lro=32 swapByteOffset=0 ti=256 vIdx=0 rIdx=0 oIdx=0 buffer=1 iui=0
v_mfma_f32_16x16x32_bf8_bf8 a[4+0:7+0], v[vgprValuB_X0_I0+0+0+0:vgprValuB_X0_I0+0+0+0+1], v[vgprValuA_X0_I0+2+0+0:vgprValuA_X0_I0+2+0+0+1], a[4:7]
/*  mfmaIndex:2  */
_ds_load_b64 v[vgprValuB_X1_I0+0:vgprValuB_X1_I0+0+1], v[vgprLocalReadAddrB] offset:32 // L -> Reg lro=32 swapByteOffset=0 ti=32 vIdx=0 rIdx=0 oIdx=0 buffer=1 iui=0
v_mfma_f32_16x16x32_bf8_bf8 a[8+0:11+0], v[vgprValuB_X0_I0+0+0+0:vgprValuB_X0_I0+0+0+0+1], v[vgprValuA_X0_I0+4+0+0:vgprValuA_X0_I0+4+0+0+1], a[8:11]
/*  mfmaIndex:3  */
_ds_load_b64 v[vgprValuA_X1_I0+2:vgprValuA_X1_I0+2+1], v[vgprLocalReadAddrA] offset:160 // L -> Reg lro=32 swapByteOffset=0 ti=256 vIdx=0 rIdx=0 oIdx=0 buffer=1 iui=0
v_mfma_f32_16x16x32_bf8_bf8 a[12+0:15+0], v[vgprValuB_X0_I0+0+0+0:vgprValuB_X0_I0+0+0+0+1], v[vgprValuA_X0_I0+6+0+0:vgprValuA_X0_I0+6+0+0+1], a[12:15]
/*  mfmaIndex:4  */
_ds_load_b64 v[vgprValuA_X1_I0+4:vgprValuA_X1_I0+4+1], v[vgprLocalReadAddrA] offset:288 // L -> Reg lro=32 swapByteOffset=0 ti=256 vIdx=0 rIdx=0 oIdx=0 buffer=1 iui=0
	;; [unrolled: 3-line block ×7, first 2 shown]
v_mfma_f32_16x16x32_bf8_bf8 a[56+0:59+0], v[vgprValuB_X0_I0+2+0+0:vgprValuB_X0_I0+2+0+0+1], v[vgprValuA_X0_I0+12+0+0:vgprValuA_X0_I0+12+0+0+1], a[56:59]
/*  mfmaIndex:10  */
_ds_load_b64 v[vgprValuB_X1_I0+2:vgprValuB_X1_I0+2+1], v[vgprLocalReadAddrB] offset:4384 // L -> Reg lro=32 swapByteOffset=0 ti=32 vIdx=1 rIdx=0 oIdx=0 buffer=1 iui=0
v_mfma_f32_16x16x32_bf8_bf8 a[52+0:55+0], v[vgprValuB_X0_I0+2+0+0:vgprValuB_X0_I0+2+0+0+1], v[vgprValuA_X0_I0+10+0+0:vgprValuA_X0_I0+10+0+0+1], a[52:55]
/*  mfmaIndex:11  */
_ds_load_b64 v[vgprValuB_X1_I0+4:vgprValuB_X1_I0+4+1], v[vgprLocalReadAddrB] offset:8736 // L -> Reg lro=32 swapByteOffset=0 ti=32 vIdx=2 rIdx=0 oIdx=0 buffer=1 iui=0
	;; [unrolled: 3-line block ×6, first 2 shown]
v_mfma_f32_16x16x32_bf8_bf8 a[32+0:35+0], v[vgprValuB_X0_I0+2+0+0:vgprValuB_X0_I0+2+0+0+1], v[vgprValuA_X0_I0+0+0+0:vgprValuA_X0_I0+0+0+0+1], a[32:35]
/*  mfmaIndex:16  */
/* localReadsVacancy: latencyLeft 2 */
_ds_load_b64 v[vgprValuA_X2_I0+0:vgprValuA_X2_I0+0+1], v[vgprLocalReadAddrA] offset:64 // L -> Reg lro=64 swapByteOffset=0 ti=256 vIdx=0 rIdx=0 oIdx=0 buffer=2 iui=0
v_mfma_f32_16x16x32_bf8_bf8 a[64+0:67+0], v[vgprValuB_X0_I0+4+0+0:vgprValuB_X0_I0+4+0+0+1], v[vgprValuA_X0_I0+0+0+0:vgprValuA_X0_I0+0+0+0+1], a[64:67]
/*  mfmaIndex:17  */
/* localReadsVacancy: latencyLeft 2 */
_ds_load_b64 v[vgprValuB_X2_I0+0:vgprValuB_X2_I0+0+1], v[vgprLocalReadAddrB] offset:64 // L -> Reg lro=64 swapByteOffset=0 ti=32 vIdx=0 rIdx=0 oIdx=0 buffer=2 iui=0
v_mfma_f32_16x16x32_bf8_bf8 a[68+0:71+0], v[vgprValuB_X0_I0+4+0+0:vgprValuB_X0_I0+4+0+0+1], v[vgprValuA_X0_I0+2+0+0:vgprValuA_X0_I0+2+0+0+1], a[68:71]
/*  mfmaIndex:18  */
/* localReadsVacancy: latencyLeft 2 */
_ds_load_b64 v[vgprValuA_X2_I0+2:vgprValuA_X2_I0+2+1], v[vgprLocalReadAddrA] offset:192 // L -> Reg lro=64 swapByteOffset=0 ti=256 vIdx=0 rIdx=0 oIdx=0 buffer=2 iui=0
v_mfma_f32_16x16x32_bf8_bf8 a[72+0:75+0], v[vgprValuB_X0_I0+4+0+0:vgprValuB_X0_I0+4+0+0+1], v[vgprValuA_X0_I0+4+0+0:vgprValuA_X0_I0+4+0+0+1], a[72:75]
/*  mfmaIndex:19  */
/* localReadsVacancy: latencyLeft 2 */
_ds_load_b64 v[vgprValuA_X2_I0+4:vgprValuA_X2_I0+4+1], v[vgprLocalReadAddrA] offset:320 // L -> Reg lro=64 swapByteOffset=0 ti=256 vIdx=0 rIdx=0 oIdx=0 buffer=2 iui=0
	;; [unrolled: 4-line block ×7, first 2 shown]
v_mfma_f32_16x16x32_bf8_bf8 a[124+0:127+0], v[vgprValuB_X0_I0+6+0+0:vgprValuB_X0_I0+6+0+0+1], v[vgprValuA_X0_I0+14+0+0:vgprValuA_X0_I0+14+0+0+1], a[124:127]
/*  mfmaIndex:25  */
/* localReadsVacancy: latencyLeft 2 */
_ds_load_b64 v[vgprValuB_X2_I0+2:vgprValuB_X2_I0+2+1], v[vgprLocalReadAddrB] offset:4416 // L -> Reg lro=64 swapByteOffset=0 ti=32 vIdx=1 rIdx=0 oIdx=0 buffer=2 iui=0
v_mfma_f32_16x16x32_bf8_bf8 a[120+0:123+0], v[vgprValuB_X0_I0+6+0+0:vgprValuB_X0_I0+6+0+0+1], v[vgprValuA_X0_I0+12+0+0:vgprValuA_X0_I0+12+0+0+1], a[120:123]
/*  mfmaIndex:26  */
/* localReadsVacancy: latencyLeft 2 */
_ds_load_b64 v[vgprValuB_X2_I0+4:vgprValuB_X2_I0+4+1], v[vgprLocalReadAddrB] offset:8768 // L -> Reg lro=64 swapByteOffset=0 ti=32 vIdx=2 rIdx=0 oIdx=0 buffer=2 iui=0
v_mfma_f32_16x16x32_bf8_bf8 a[116+0:119+0], v[vgprValuB_X0_I0+6+0+0:vgprValuB_X0_I0+6+0+0+1], v[vgprValuA_X0_I0+10+0+0:vgprValuA_X0_I0+10+0+0+1], a[116:119]
/*  mfmaIndex:27  */
/* localReadsVacancy: latencyLeft 2 */
_ds_load_b64 v[vgprValuB_X2_I0+6:vgprValuB_X2_I0+6+1], v[vgprLocalReadAddrB] offset:13120 // L -> Reg lro=64 swapByteOffset=0 ti=32 vIdx=3 rIdx=0 oIdx=0 buffer=2 iui=0
v_mfma_f32_16x16x32_bf8_bf8 a[112+0:115+0], v[vgprValuB_X0_I0+6+0+0:vgprValuB_X0_I0+6+0+0+1], v[vgprValuA_X0_I0+8+0+0:vgprValuA_X0_I0+8+0+0+1], a[112:115]
/*  mfmaIndex:28  */
/* localReadsVacancy: latencyLeft 2 */
_ds_load_b64 v[vgprValuB_X2_I0+8:vgprValuB_X2_I0+8+1], v[vgprLocalReadAddrB] offset:17472 // L -> Reg lro=64 swapByteOffset=0 ti=32 vIdx=4 rIdx=0 oIdx=0 buffer=2 iui=0
v_mfma_f32_16x16x32_bf8_bf8 a[108+0:111+0], v[vgprValuB_X0_I0+6+0+0:vgprValuB_X0_I0+6+0+0+1], v[vgprValuA_X0_I0+6+0+0:vgprValuA_X0_I0+6+0+0+1], a[108:111]
/*  mfmaIndex:29  */
/* localReadsVacancy: latencyLeft 2 */
_ds_load_b64 v[vgprValuB_X2_I0+10:vgprValuB_X2_I0+10+1], v[vgprLocalReadAddrB] offset:21824 // L -> Reg lro=64 swapByteOffset=0 ti=32 vIdx=5 rIdx=0 oIdx=0 buffer=2 iui=0
v_mfma_f32_16x16x32_bf8_bf8 a[104+0:107+0], v[vgprValuB_X0_I0+6+0+0:vgprValuB_X0_I0+6+0+0+1], v[vgprValuA_X0_I0+4+0+0:vgprValuA_X0_I0+4+0+0+1], a[104:107]
/*  mfmaIndex:30  */
/* localReadsVacancy: latencyLeft 2 */
_ds_load_b64 v[vgprValuB_X2_I0+12:vgprValuB_X2_I0+12+1], v[vgprLocalReadAddrB] offset:26176 // L -> Reg lro=64 swapByteOffset=0 ti=32 vIdx=6 rIdx=0 oIdx=0 buffer=2 iui=0
v_mfma_f32_16x16x32_bf8_bf8 a[100+0:103+0], v[vgprValuB_X0_I0+6+0+0:vgprValuB_X0_I0+6+0+0+1], v[vgprValuA_X0_I0+2+0+0:vgprValuA_X0_I0+2+0+0+1], a[100:103]
/*  mfmaIndex:31  */
/* localReadsVacancy: latencyLeft 2 */
_ds_load_b64 v[vgprValuA_X3_I0+0:vgprValuA_X3_I0+0+1], v[vgprLocalReadAddrA] offset:96 // L -> Reg lro=96 swapByteOffset=0 ti=256 vIdx=0 rIdx=0 oIdx=0 buffer=3 iui=0
v_mfma_f32_16x16x32_bf8_bf8 a[96+0:99+0], v[vgprValuB_X0_I0+6+0+0:vgprValuB_X0_I0+6+0+0+1], v[vgprValuA_X0_I0+0+0+0:vgprValuA_X0_I0+0+0+0+1], a[96:99]
/*  mfmaIndex:32  */
/* localReadsVacancy: latencyLeft 2 */
_ds_load_b64 v[vgprValuB_X3_I0+0:vgprValuB_X3_I0+0+1], v[vgprLocalReadAddrB] offset:96 // L -> Reg lro=96 swapByteOffset=0 ti=32 vIdx=0 rIdx=0 oIdx=0 buffer=3 iui=0
v_mfma_f32_16x16x32_bf8_bf8 a[128+0:131+0], v[vgprValuB_X0_I0+8+0+0:vgprValuB_X0_I0+8+0+0+1], v[vgprValuA_X0_I0+0+0+0:vgprValuA_X0_I0+0+0+0+1], a[128:131]
/*  mfmaIndex:33  */
/* localReadsVacancy: latencyLeft 2 */
_ds_load_b64 v[vgprValuA_X3_I0+2:vgprValuA_X3_I0+2+1], v[vgprLocalReadAddrA] offset:224 // L -> Reg lro=96 swapByteOffset=0 ti=256 vIdx=0 rIdx=0 oIdx=0 buffer=3 iui=0
v_mfma_f32_16x16x32_bf8_bf8 a[132+0:135+0], v[vgprValuB_X0_I0+8+0+0:vgprValuB_X0_I0+8+0+0+1], v[vgprValuA_X0_I0+2+0+0:vgprValuA_X0_I0+2+0+0+1], a[132:135]
/*  mfmaIndex:34  */
/* localReadsVacancy: latencyLeft 2 */
_ds_load_b64 v[vgprValuA_X3_I0+4:vgprValuA_X3_I0+4+1], v[vgprLocalReadAddrA] offset:352 // L -> Reg lro=96 swapByteOffset=0 ti=256 vIdx=0 rIdx=0 oIdx=0 buffer=3 iui=0
v_mfma_f32_16x16x32_bf8_bf8 a[136+0:139+0], v[vgprValuB_X0_I0+8+0+0:vgprValuB_X0_I0+8+0+0+1], v[vgprValuA_X0_I0+4+0+0:vgprValuA_X0_I0+4+0+0+1], a[136:139]
/*  mfmaIndex:35  */
/* localReadsVacancy: latencyLeft 2 */
_ds_load_b64 v[vgprValuA_X3_I0+6:vgprValuA_X3_I0+6+1], v[vgprLocalReadAddrA] offset:480 // L -> Reg lro=96 swapByteOffset=0 ti=256 vIdx=0 rIdx=0 oIdx=0 buffer=3 iui=0
v_mfma_f32_16x16x32_bf8_bf8 a[140+0:143+0], v[vgprValuB_X0_I0+8+0+0:vgprValuB_X0_I0+8+0+0+1], v[vgprValuA_X0_I0+6+0+0:vgprValuA_X0_I0+6+0+0+1], a[140:143]
/*  mfmaIndex:36  */
/* localReadsVacancy: latencyLeft 2 */
_ds_load_b64 v[vgprValuA_X3_I0+8:vgprValuA_X3_I0+8+1], v[vgprLocalReadAddrA] offset:608 // L -> Reg lro=96 swapByteOffset=0 ti=256 vIdx=0 rIdx=0 oIdx=0 buffer=3 iui=0
v_mfma_f32_16x16x32_bf8_bf8 a[144+0:147+0], v[vgprValuB_X0_I0+8+0+0:vgprValuB_X0_I0+8+0+0+1], v[vgprValuA_X0_I0+8+0+0:vgprValuA_X0_I0+8+0+0+1], a[144:147]
/*  mfmaIndex:37  */
/* localReadsVacancy: latencyLeft 2 */
_ds_load_b64 v[vgprValuA_X3_I0+10:vgprValuA_X3_I0+10+1], v[vgprLocalReadAddrA] offset:736 // L -> Reg lro=96 swapByteOffset=0 ti=256 vIdx=0 rIdx=0 oIdx=0 buffer=3 iui=0
v_mfma_f32_16x16x32_bf8_bf8 a[148+0:151+0], v[vgprValuB_X0_I0+8+0+0:vgprValuB_X0_I0+8+0+0+1], v[vgprValuA_X0_I0+10+0+0:vgprValuA_X0_I0+10+0+0+1], a[148:151]
/*  mfmaIndex:38  */
/* localReadsVacancy: latencyLeft 2 */
_ds_load_b64 v[vgprValuA_X3_I0+12:vgprValuA_X3_I0+12+1], v[vgprLocalReadAddrA] offset:864 // L -> Reg lro=96 swapByteOffset=0 ti=256 vIdx=0 rIdx=0 oIdx=0 buffer=3 iui=0
v_mfma_f32_16x16x32_bf8_bf8 a[152+0:155+0], v[vgprValuB_X0_I0+8+0+0:vgprValuB_X0_I0+8+0+0+1], v[vgprValuA_X0_I0+12+0+0:vgprValuA_X0_I0+12+0+0+1], a[152:155]
/*  mfmaIndex:39  */
/* localReadsVacancy: latencyLeft 2 */
_ds_load_b64 v[vgprValuA_X3_I0+14:vgprValuA_X3_I0+14+1], v[vgprLocalReadAddrA] offset:992 // L -> Reg lro=96 swapByteOffset=0 ti=256 vIdx=0 rIdx=0 oIdx=0 buffer=3 iui=0
v_mfma_f32_16x16x32_bf8_bf8 a[156+0:159+0], v[vgprValuB_X0_I0+8+0+0:vgprValuB_X0_I0+8+0+0+1], v[vgprValuA_X0_I0+14+0+0:vgprValuA_X0_I0+14+0+0+1], a[156:159]
/*  mfmaIndex:40  */
/* localReadsVacancy: latencyLeft 2 */
_ds_load_b64 v[vgprValuB_X3_I0+2:vgprValuB_X3_I0+2+1], v[vgprLocalReadAddrB] offset:4448 // L -> Reg lro=96 swapByteOffset=0 ti=32 vIdx=1 rIdx=0 oIdx=0 buffer=3 iui=0
v_mfma_f32_16x16x32_bf8_bf8 a[188+0:191+0], v[vgprValuB_X0_I0+10+0+0:vgprValuB_X0_I0+10+0+0+1], v[vgprValuA_X0_I0+14+0+0:vgprValuA_X0_I0+14+0+0+1], a[188:191]
/*  mfmaIndex:41  */
/* localReadsVacancy: latencyLeft 2 */
_ds_load_b64 v[vgprValuB_X3_I0+4:vgprValuB_X3_I0+4+1], v[vgprLocalReadAddrB] offset:8800 // L -> Reg lro=96 swapByteOffset=0 ti=32 vIdx=2 rIdx=0 oIdx=0 buffer=3 iui=0
	;; [unrolled: 4-line block ×6, first 2 shown]
v_mfma_f32_16x16x32_bf8_bf8 a[168+0:171+0], v[vgprValuB_X0_I0+10+0+0:vgprValuB_X0_I0+10+0+0+1], v[vgprValuA_X0_I0+4+0+0:vgprValuA_X0_I0+4+0+0+1], a[168:171]
/*  mfmaIndex:46  */
/* localReadsVacancy: latencyLeft 2 */
v_mfma_f32_16x16x32_bf8_bf8 a[164+0:167+0], v[vgprValuB_X0_I0+10+0+0:vgprValuB_X0_I0+10+0+0+1], v[vgprValuA_X0_I0+2+0+0:vgprValuA_X0_I0+2+0+0+1], a[164:167]
/*  mfmaIndex:47  */
/* localReadsVacancy: latencyLeft 2 */
	;; [unrolled: 3-line block ×10, first 2 shown]
v_mfma_f32_16x16x32_bf8_bf8 a[220+0:223+0], v[vgprValuB_X0_I0+12+0+0:vgprValuB_X0_I0+12+0+0+1], v[vgprValuA_X0_I0+14+0+0:vgprValuA_X0_I0+14+0+0+1], a[220:223]
/* numPrefetchIter=0 */
/* dataAtIterA=-1 numReadsIterA=1 skipReadsIterA=1 readsPerIterA=8 */
/* dataAtIterB=-1 numReadsIterB=1 skipReadsIterB=1 readsPerIterB=7 */


/* iter 1 (last unrolled loop) */

/*  grEndMfmaIndex:0, lwStartMfmaIndex:198, lwEndMfmaIndex:198  */
/*  numMfmaForLR:20, barrierMfmaIndex:203, LocalWritePerMfma:0.405 */
/*  mfmaIndex:56  */
/* localReadsVacancy: latencyLeft 2 */
s_waitcnt lgkmcnt(15)                              // lgkmcnt=0 vmcnt=-1wait for prior local read local write old=15, new=15 newLW=0 newLR=0
v_mfma_f32_16x16x32_bf8_bf8 a[0+0:3+0], v[vgprValuB_X1_I0+0+0+0:vgprValuB_X1_I0+0+0+0+1], v[vgprValuA_X1_I0+0+0+0:vgprValuA_X1_I0+0+0+0+1], a[0:3]
/*  mfmaIndex:57  */
/* localReadsVacancy: latencyLeft 2 */
v_mfma_f32_16x16x32_bf8_bf8 a[4+0:7+0], v[vgprValuB_X1_I0+0+0+0:vgprValuB_X1_I0+0+0+0+1], v[vgprValuA_X1_I0+2+0+0:vgprValuA_X1_I0+2+0+0+1], a[4:7]
/*  mfmaIndex:58  */
/* localReadsVacancy: latencyLeft 2 */
	;; [unrolled: 3-line block ×55, first 2 shown]
v_mfma_f32_16x16x32_bf8_bf8 a[220+0:223+0], v[vgprValuB_X1_I0+12+0+0:vgprValuB_X1_I0+12+0+0+1], v[vgprValuA_X1_I0+14+0+0:vgprValuA_X1_I0+14+0+0+1], a[220:223]
/* numPrefetchIter=0 */
/* dataAtIterA=0 numReadsIterA=2 skipReadsIterA=1 readsPerIterA=8 */
/* dataAtIterB=0 numReadsIterB=2 skipReadsIterB=1 readsPerIterB=7 */


/* iter 2 (last unrolled loop) */

/*  grEndMfmaIndex:0, lwStartMfmaIndex:198, lwEndMfmaIndex:198  */
/*  numMfmaForLR:20, barrierMfmaIndex:203, LocalWritePerMfma:0.405 */
/*  mfmaIndex:112  */
/* localReadsVacancy: latencyLeft 2 */
s_waitcnt lgkmcnt(0)                               // lgkmcnt=0 vmcnt=-1wait for prior local read local write old=0, new=0 newLW=0 newLR=0
v_mfma_f32_16x16x32_bf8_bf8 a[0+0:3+0], v[vgprValuB_X2_I0+0+0+0:vgprValuB_X2_I0+0+0+0+1], v[vgprValuA_X2_I0+0+0+0:vgprValuA_X2_I0+0+0+0+1], a[0:3]
/*  mfmaIndex:113  */
/* localReadsVacancy: latencyLeft 2 */
v_mfma_f32_16x16x32_bf8_bf8 a[4+0:7+0], v[vgprValuB_X2_I0+0+0+0:vgprValuB_X2_I0+0+0+0+1], v[vgprValuA_X2_I0+2+0+0:vgprValuA_X2_I0+2+0+0+1], a[4:7]
/*  mfmaIndex:114  */
/* localReadsVacancy: latencyLeft 2 */
v_mfma_f32_16x16x32_bf8_bf8 a[8+0:11+0], v[vgprValuB_X2_I0+0+0+0:vgprValuB_X2_I0+0+0+0+1], v[vgprValuA_X2_I0+4+0+0:vgprValuA_X2_I0+4+0+0+1], a[8:11]
/*  mfmaIndex:115  */
/* localReadsVacancy: latencyLeft 2 */
v_mfma_f32_16x16x32_bf8_bf8 a[12+0:15+0], v[vgprValuB_X2_I0+0+0+0:vgprValuB_X2_I0+0+0+0+1], v[vgprValuA_X2_I0+6+0+0:vgprValuA_X2_I0+6+0+0+1], a[12:15]
/*  mfmaIndex:116  */
/* localReadsVacancy: latencyLeft 2 */
v_mfma_f32_16x16x32_bf8_bf8 a[16+0:19+0], v[vgprValuB_X2_I0+0+0+0:vgprValuB_X2_I0+0+0+0+1], v[vgprValuA_X2_I0+8+0+0:vgprValuA_X2_I0+8+0+0+1], a[16:19]
/*  mfmaIndex:117  */
/* localReadsVacancy: latencyLeft 2 */
v_mfma_f32_16x16x32_bf8_bf8 a[20+0:23+0], v[vgprValuB_X2_I0+0+0+0:vgprValuB_X2_I0+0+0+0+1], v[vgprValuA_X2_I0+10+0+0:vgprValuA_X2_I0+10+0+0+1], a[20:23]
/*  mfmaIndex:118  */
/* localReadsVacancy: latencyLeft 2 */
v_mfma_f32_16x16x32_bf8_bf8 a[24+0:27+0], v[vgprValuB_X2_I0+0+0+0:vgprValuB_X2_I0+0+0+0+1], v[vgprValuA_X2_I0+12+0+0:vgprValuA_X2_I0+12+0+0+1], a[24:27]
/*  mfmaIndex:119  */
/* localReadsVacancy: latencyLeft 2 */
v_mfma_f32_16x16x32_bf8_bf8 a[28+0:31+0], v[vgprValuB_X2_I0+0+0+0:vgprValuB_X2_I0+0+0+0+1], v[vgprValuA_X2_I0+14+0+0:vgprValuA_X2_I0+14+0+0+1], a[28:31]
/*  mfmaIndex:120  */
/* localReadsVacancy: latencyLeft 2 */
v_mfma_f32_16x16x32_bf8_bf8 a[60+0:63+0], v[vgprValuB_X2_I0+2+0+0:vgprValuB_X2_I0+2+0+0+1], v[vgprValuA_X2_I0+14+0+0:vgprValuA_X2_I0+14+0+0+1], a[60:63]
/*  mfmaIndex:121  */
/* localReadsVacancy: latencyLeft 2 */
v_mfma_f32_16x16x32_bf8_bf8 a[56+0:59+0], v[vgprValuB_X2_I0+2+0+0:vgprValuB_X2_I0+2+0+0+1], v[vgprValuA_X2_I0+12+0+0:vgprValuA_X2_I0+12+0+0+1], a[56:59]
/*  mfmaIndex:122  */
/* localReadsVacancy: latencyLeft 2 */
v_mfma_f32_16x16x32_bf8_bf8 a[52+0:55+0], v[vgprValuB_X2_I0+2+0+0:vgprValuB_X2_I0+2+0+0+1], v[vgprValuA_X2_I0+10+0+0:vgprValuA_X2_I0+10+0+0+1], a[52:55]
/*  mfmaIndex:123  */
/* localReadsVacancy: latencyLeft 2 */
v_mfma_f32_16x16x32_bf8_bf8 a[48+0:51+0], v[vgprValuB_X2_I0+2+0+0:vgprValuB_X2_I0+2+0+0+1], v[vgprValuA_X2_I0+8+0+0:vgprValuA_X2_I0+8+0+0+1], a[48:51]
/*  mfmaIndex:124  */
/* localReadsVacancy: latencyLeft 2 */
v_mfma_f32_16x16x32_bf8_bf8 a[44+0:47+0], v[vgprValuB_X2_I0+2+0+0:vgprValuB_X2_I0+2+0+0+1], v[vgprValuA_X2_I0+6+0+0:vgprValuA_X2_I0+6+0+0+1], a[44:47]
/*  mfmaIndex:125  */
/* localReadsVacancy: latencyLeft 2 */
v_mfma_f32_16x16x32_bf8_bf8 a[40+0:43+0], v[vgprValuB_X2_I0+2+0+0:vgprValuB_X2_I0+2+0+0+1], v[vgprValuA_X2_I0+4+0+0:vgprValuA_X2_I0+4+0+0+1], a[40:43]
/*  mfmaIndex:126  */
/* localReadsVacancy: latencyLeft 2 */
v_mfma_f32_16x16x32_bf8_bf8 a[36+0:39+0], v[vgprValuB_X2_I0+2+0+0:vgprValuB_X2_I0+2+0+0+1], v[vgprValuA_X2_I0+2+0+0:vgprValuA_X2_I0+2+0+0+1], a[36:39]
/*  mfmaIndex:127  */
/* localReadsVacancy: latencyLeft 2 */
v_mfma_f32_16x16x32_bf8_bf8 a[32+0:35+0], v[vgprValuB_X2_I0+2+0+0:vgprValuB_X2_I0+2+0+0+1], v[vgprValuA_X2_I0+0+0+0:vgprValuA_X2_I0+0+0+0+1], a[32:35]
/*  mfmaIndex:128  */
/* localReadsVacancy: latencyLeft 2 */
v_mfma_f32_16x16x32_bf8_bf8 a[64+0:67+0], v[vgprValuB_X2_I0+4+0+0:vgprValuB_X2_I0+4+0+0+1], v[vgprValuA_X2_I0+0+0+0:vgprValuA_X2_I0+0+0+0+1], a[64:67]
/*  mfmaIndex:129  */
/* localReadsVacancy: latencyLeft 2 */
v_mfma_f32_16x16x32_bf8_bf8 a[68+0:71+0], v[vgprValuB_X2_I0+4+0+0:vgprValuB_X2_I0+4+0+0+1], v[vgprValuA_X2_I0+2+0+0:vgprValuA_X2_I0+2+0+0+1], a[68:71]
/*  mfmaIndex:130  */
/* localReadsVacancy: latencyLeft 2 */
v_mfma_f32_16x16x32_bf8_bf8 a[72+0:75+0], v[vgprValuB_X2_I0+4+0+0:vgprValuB_X2_I0+4+0+0+1], v[vgprValuA_X2_I0+4+0+0:vgprValuA_X2_I0+4+0+0+1], a[72:75]
/*  mfmaIndex:131  */
/* localReadsVacancy: latencyLeft 2 */
v_mfma_f32_16x16x32_bf8_bf8 a[76+0:79+0], v[vgprValuB_X2_I0+4+0+0:vgprValuB_X2_I0+4+0+0+1], v[vgprValuA_X2_I0+6+0+0:vgprValuA_X2_I0+6+0+0+1], a[76:79]
/*  mfmaIndex:132  */
/* localReadsVacancy: latencyLeft 2 */
v_mfma_f32_16x16x32_bf8_bf8 a[80+0:83+0], v[vgprValuB_X2_I0+4+0+0:vgprValuB_X2_I0+4+0+0+1], v[vgprValuA_X2_I0+8+0+0:vgprValuA_X2_I0+8+0+0+1], a[80:83]
/*  mfmaIndex:133  */
/* localReadsVacancy: latencyLeft 2 */
v_mfma_f32_16x16x32_bf8_bf8 a[84+0:87+0], v[vgprValuB_X2_I0+4+0+0:vgprValuB_X2_I0+4+0+0+1], v[vgprValuA_X2_I0+10+0+0:vgprValuA_X2_I0+10+0+0+1], a[84:87]
/*  mfmaIndex:134  */
/* localReadsVacancy: latencyLeft 2 */
v_mfma_f32_16x16x32_bf8_bf8 a[88+0:91+0], v[vgprValuB_X2_I0+4+0+0:vgprValuB_X2_I0+4+0+0+1], v[vgprValuA_X2_I0+12+0+0:vgprValuA_X2_I0+12+0+0+1], a[88:91]
/*  mfmaIndex:135  */
/* localReadsVacancy: latencyLeft 2 */
v_mfma_f32_16x16x32_bf8_bf8 a[92+0:95+0], v[vgprValuB_X2_I0+4+0+0:vgprValuB_X2_I0+4+0+0+1], v[vgprValuA_X2_I0+14+0+0:vgprValuA_X2_I0+14+0+0+1], a[92:95]
/*  mfmaIndex:136  */
/* localReadsVacancy: latencyLeft 2 */
v_mfma_f32_16x16x32_bf8_bf8 a[124+0:127+0], v[vgprValuB_X2_I0+6+0+0:vgprValuB_X2_I0+6+0+0+1], v[vgprValuA_X2_I0+14+0+0:vgprValuA_X2_I0+14+0+0+1], a[124:127]
/*  mfmaIndex:137  */
/* localReadsVacancy: latencyLeft 2 */
v_mfma_f32_16x16x32_bf8_bf8 a[120+0:123+0], v[vgprValuB_X2_I0+6+0+0:vgprValuB_X2_I0+6+0+0+1], v[vgprValuA_X2_I0+12+0+0:vgprValuA_X2_I0+12+0+0+1], a[120:123]
/*  mfmaIndex:138  */
/* localReadsVacancy: latencyLeft 2 */
v_mfma_f32_16x16x32_bf8_bf8 a[116+0:119+0], v[vgprValuB_X2_I0+6+0+0:vgprValuB_X2_I0+6+0+0+1], v[vgprValuA_X2_I0+10+0+0:vgprValuA_X2_I0+10+0+0+1], a[116:119]
/*  mfmaIndex:139  */
/* localReadsVacancy: latencyLeft 2 */
v_mfma_f32_16x16x32_bf8_bf8 a[112+0:115+0], v[vgprValuB_X2_I0+6+0+0:vgprValuB_X2_I0+6+0+0+1], v[vgprValuA_X2_I0+8+0+0:vgprValuA_X2_I0+8+0+0+1], a[112:115]
/*  mfmaIndex:140  */
/* localReadsVacancy: latencyLeft 2 */
v_mfma_f32_16x16x32_bf8_bf8 a[108+0:111+0], v[vgprValuB_X2_I0+6+0+0:vgprValuB_X2_I0+6+0+0+1], v[vgprValuA_X2_I0+6+0+0:vgprValuA_X2_I0+6+0+0+1], a[108:111]
/*  mfmaIndex:141  */
/* localReadsVacancy: latencyLeft 2 */
v_mfma_f32_16x16x32_bf8_bf8 a[104+0:107+0], v[vgprValuB_X2_I0+6+0+0:vgprValuB_X2_I0+6+0+0+1], v[vgprValuA_X2_I0+4+0+0:vgprValuA_X2_I0+4+0+0+1], a[104:107]
/*  mfmaIndex:142  */
/* localReadsVacancy: latencyLeft 2 */
v_mfma_f32_16x16x32_bf8_bf8 a[100+0:103+0], v[vgprValuB_X2_I0+6+0+0:vgprValuB_X2_I0+6+0+0+1], v[vgprValuA_X2_I0+2+0+0:vgprValuA_X2_I0+2+0+0+1], a[100:103]
/*  mfmaIndex:143  */
/* localReadsVacancy: latencyLeft 2 */
v_mfma_f32_16x16x32_bf8_bf8 a[96+0:99+0], v[vgprValuB_X2_I0+6+0+0:vgprValuB_X2_I0+6+0+0+1], v[vgprValuA_X2_I0+0+0+0:vgprValuA_X2_I0+0+0+0+1], a[96:99]
/*  mfmaIndex:144  */
/* localReadsVacancy: latencyLeft 2 */
v_mfma_f32_16x16x32_bf8_bf8 a[128+0:131+0], v[vgprValuB_X2_I0+8+0+0:vgprValuB_X2_I0+8+0+0+1], v[vgprValuA_X2_I0+0+0+0:vgprValuA_X2_I0+0+0+0+1], a[128:131]
/*  mfmaIndex:145  */
/* localReadsVacancy: latencyLeft 2 */
v_mfma_f32_16x16x32_bf8_bf8 a[132+0:135+0], v[vgprValuB_X2_I0+8+0+0:vgprValuB_X2_I0+8+0+0+1], v[vgprValuA_X2_I0+2+0+0:vgprValuA_X2_I0+2+0+0+1], a[132:135]
/*  mfmaIndex:146  */
/* localReadsVacancy: latencyLeft 2 */
v_mfma_f32_16x16x32_bf8_bf8 a[136+0:139+0], v[vgprValuB_X2_I0+8+0+0:vgprValuB_X2_I0+8+0+0+1], v[vgprValuA_X2_I0+4+0+0:vgprValuA_X2_I0+4+0+0+1], a[136:139]
/*  mfmaIndex:147  */
/* localReadsVacancy: latencyLeft 2 */
v_mfma_f32_16x16x32_bf8_bf8 a[140+0:143+0], v[vgprValuB_X2_I0+8+0+0:vgprValuB_X2_I0+8+0+0+1], v[vgprValuA_X2_I0+6+0+0:vgprValuA_X2_I0+6+0+0+1], a[140:143]
/*  mfmaIndex:148  */
/* localReadsVacancy: latencyLeft 2 */
v_mfma_f32_16x16x32_bf8_bf8 a[144+0:147+0], v[vgprValuB_X2_I0+8+0+0:vgprValuB_X2_I0+8+0+0+1], v[vgprValuA_X2_I0+8+0+0:vgprValuA_X2_I0+8+0+0+1], a[144:147]
/*  mfmaIndex:149  */
/* localReadsVacancy: latencyLeft 2 */
v_mfma_f32_16x16x32_bf8_bf8 a[148+0:151+0], v[vgprValuB_X2_I0+8+0+0:vgprValuB_X2_I0+8+0+0+1], v[vgprValuA_X2_I0+10+0+0:vgprValuA_X2_I0+10+0+0+1], a[148:151]
/*  mfmaIndex:150  */
/* localReadsVacancy: latencyLeft 2 */
v_mfma_f32_16x16x32_bf8_bf8 a[152+0:155+0], v[vgprValuB_X2_I0+8+0+0:vgprValuB_X2_I0+8+0+0+1], v[vgprValuA_X2_I0+12+0+0:vgprValuA_X2_I0+12+0+0+1], a[152:155]
/*  mfmaIndex:151  */
/* localReadsVacancy: latencyLeft 2 */
v_mfma_f32_16x16x32_bf8_bf8 a[156+0:159+0], v[vgprValuB_X2_I0+8+0+0:vgprValuB_X2_I0+8+0+0+1], v[vgprValuA_X2_I0+14+0+0:vgprValuA_X2_I0+14+0+0+1], a[156:159]
/*  mfmaIndex:152  */
/* localReadsVacancy: latencyLeft 2 */
v_mfma_f32_16x16x32_bf8_bf8 a[188+0:191+0], v[vgprValuB_X2_I0+10+0+0:vgprValuB_X2_I0+10+0+0+1], v[vgprValuA_X2_I0+14+0+0:vgprValuA_X2_I0+14+0+0+1], a[188:191]
/*  mfmaIndex:153  */
/* localReadsVacancy: latencyLeft 2 */
v_mfma_f32_16x16x32_bf8_bf8 a[184+0:187+0], v[vgprValuB_X2_I0+10+0+0:vgprValuB_X2_I0+10+0+0+1], v[vgprValuA_X2_I0+12+0+0:vgprValuA_X2_I0+12+0+0+1], a[184:187]
/*  mfmaIndex:154  */
/* localReadsVacancy: latencyLeft 2 */
v_mfma_f32_16x16x32_bf8_bf8 a[180+0:183+0], v[vgprValuB_X2_I0+10+0+0:vgprValuB_X2_I0+10+0+0+1], v[vgprValuA_X2_I0+10+0+0:vgprValuA_X2_I0+10+0+0+1], a[180:183]
/*  mfmaIndex:155  */
/* localReadsVacancy: latencyLeft 2 */
v_mfma_f32_16x16x32_bf8_bf8 a[176+0:179+0], v[vgprValuB_X2_I0+10+0+0:vgprValuB_X2_I0+10+0+0+1], v[vgprValuA_X2_I0+8+0+0:vgprValuA_X2_I0+8+0+0+1], a[176:179]
/*  mfmaIndex:156  */
/* localReadsVacancy: latencyLeft 2 */
v_mfma_f32_16x16x32_bf8_bf8 a[172+0:175+0], v[vgprValuB_X2_I0+10+0+0:vgprValuB_X2_I0+10+0+0+1], v[vgprValuA_X2_I0+6+0+0:vgprValuA_X2_I0+6+0+0+1], a[172:175]
/*  mfmaIndex:157  */
/* localReadsVacancy: latencyLeft 2 */
v_mfma_f32_16x16x32_bf8_bf8 a[168+0:171+0], v[vgprValuB_X2_I0+10+0+0:vgprValuB_X2_I0+10+0+0+1], v[vgprValuA_X2_I0+4+0+0:vgprValuA_X2_I0+4+0+0+1], a[168:171]
/*  mfmaIndex:158  */
/* localReadsVacancy: latencyLeft 2 */
v_mfma_f32_16x16x32_bf8_bf8 a[164+0:167+0], v[vgprValuB_X2_I0+10+0+0:vgprValuB_X2_I0+10+0+0+1], v[vgprValuA_X2_I0+2+0+0:vgprValuA_X2_I0+2+0+0+1], a[164:167]
/*  mfmaIndex:159  */
/* localReadsVacancy: latencyLeft 2 */
v_mfma_f32_16x16x32_bf8_bf8 a[160+0:163+0], v[vgprValuB_X2_I0+10+0+0:vgprValuB_X2_I0+10+0+0+1], v[vgprValuA_X2_I0+0+0+0:vgprValuA_X2_I0+0+0+0+1], a[160:163]
/*  mfmaIndex:160  */
/* localReadsVacancy: latencyLeft 2 */
v_mfma_f32_16x16x32_bf8_bf8 a[192+0:195+0], v[vgprValuB_X2_I0+12+0+0:vgprValuB_X2_I0+12+0+0+1], v[vgprValuA_X2_I0+0+0+0:vgprValuA_X2_I0+0+0+0+1], a[192:195]
/*  mfmaIndex:161  */
/* localReadsVacancy: latencyLeft 2 */
v_mfma_f32_16x16x32_bf8_bf8 a[196+0:199+0], v[vgprValuB_X2_I0+12+0+0:vgprValuB_X2_I0+12+0+0+1], v[vgprValuA_X2_I0+2+0+0:vgprValuA_X2_I0+2+0+0+1], a[196:199]
/*  mfmaIndex:162  */
/* localReadsVacancy: latencyLeft 2 */
v_mfma_f32_16x16x32_bf8_bf8 a[200+0:203+0], v[vgprValuB_X2_I0+12+0+0:vgprValuB_X2_I0+12+0+0+1], v[vgprValuA_X2_I0+4+0+0:vgprValuA_X2_I0+4+0+0+1], a[200:203]
/*  mfmaIndex:163  */
/* localReadsVacancy: latencyLeft 2 */
v_mfma_f32_16x16x32_bf8_bf8 a[204+0:207+0], v[vgprValuB_X2_I0+12+0+0:vgprValuB_X2_I0+12+0+0+1], v[vgprValuA_X2_I0+6+0+0:vgprValuA_X2_I0+6+0+0+1], a[204:207]
/*  mfmaIndex:164  */
/* localReadsVacancy: latencyLeft 2 */
v_mfma_f32_16x16x32_bf8_bf8 a[208+0:211+0], v[vgprValuB_X2_I0+12+0+0:vgprValuB_X2_I0+12+0+0+1], v[vgprValuA_X2_I0+8+0+0:vgprValuA_X2_I0+8+0+0+1], a[208:211]
/*  mfmaIndex:165  */
/* localReadsVacancy: latencyLeft 2 */
v_mfma_f32_16x16x32_bf8_bf8 a[212+0:215+0], v[vgprValuB_X2_I0+12+0+0:vgprValuB_X2_I0+12+0+0+1], v[vgprValuA_X2_I0+10+0+0:vgprValuA_X2_I0+10+0+0+1], a[212:215]
/*  mfmaIndex:166  */
/* localReadsVacancy: latencyLeft 2 */
v_mfma_f32_16x16x32_bf8_bf8 a[216+0:219+0], v[vgprValuB_X2_I0+12+0+0:vgprValuB_X2_I0+12+0+0+1], v[vgprValuA_X2_I0+12+0+0:vgprValuA_X2_I0+12+0+0+1], a[216:219]
/*  mfmaIndex:167  */
/* localReadsVacancy: latencyLeft 2 */
v_mfma_f32_16x16x32_bf8_bf8 a[220+0:223+0], v[vgprValuB_X2_I0+12+0+0:vgprValuB_X2_I0+12+0+0+1], v[vgprValuA_X2_I0+14+0+0:vgprValuA_X2_I0+14+0+0+1], a[220:223]
/* numPrefetchIter=0 */
/* dataAtIterA=1 numReadsIterA=3 skipReadsIterA=1 readsPerIterA=8 */
/* dataAtIterB=1 numReadsIterB=3 skipReadsIterB=1 readsPerIterB=7 */


/* iter 3 (last unrolled loop) */

/*  grEndMfmaIndex:0, lwStartMfmaIndex:198, lwEndMfmaIndex:198  */
/*  numMfmaForLR:20, barrierMfmaIndex:203, LocalWritePerMfma:0.405 */
/*  mfmaIndex:168  */
s_waitcnt lgkmcnt(0)                               // lgkmcnt=0 vmcnt=-1wait for prior local read local write old=0, new=0 newLW=0 newLR=0
v_mfma_f32_16x16x32_bf8_bf8 a[0+0:3+0], v[vgprValuB_X3_I0+0+0+0:vgprValuB_X3_I0+0+0+0+1], v[vgprValuA_X3_I0+0+0+0:vgprValuA_X3_I0+0+0+0+1], a[0:3]
/*  mfmaIndex:169  */
v_mfma_f32_16x16x32_bf8_bf8 a[4+0:7+0], v[vgprValuB_X3_I0+0+0+0:vgprValuB_X3_I0+0+0+0+1], v[vgprValuA_X3_I0+2+0+0:vgprValuA_X3_I0+2+0+0+1], a[4:7]
/*  mfmaIndex:170  */
v_mfma_f32_16x16x32_bf8_bf8 a[8+0:11+0], v[vgprValuB_X3_I0+0+0+0:vgprValuB_X3_I0+0+0+0+1], v[vgprValuA_X3_I0+4+0+0:vgprValuA_X3_I0+4+0+0+1], a[8:11]
/*  mfmaIndex:171  */
v_mfma_f32_16x16x32_bf8_bf8 a[12+0:15+0], v[vgprValuB_X3_I0+0+0+0:vgprValuB_X3_I0+0+0+0+1], v[vgprValuA_X3_I0+6+0+0:vgprValuA_X3_I0+6+0+0+1], a[12:15]
/*  mfmaIndex:172  */
v_mfma_f32_16x16x32_bf8_bf8 a[16+0:19+0], v[vgprValuB_X3_I0+0+0+0:vgprValuB_X3_I0+0+0+0+1], v[vgprValuA_X3_I0+8+0+0:vgprValuA_X3_I0+8+0+0+1], a[16:19]
/*  mfmaIndex:173  */
v_mfma_f32_16x16x32_bf8_bf8 a[20+0:23+0], v[vgprValuB_X3_I0+0+0+0:vgprValuB_X3_I0+0+0+0+1], v[vgprValuA_X3_I0+10+0+0:vgprValuA_X3_I0+10+0+0+1], a[20:23]
/*  mfmaIndex:174  */
v_mfma_f32_16x16x32_bf8_bf8 a[24+0:27+0], v[vgprValuB_X3_I0+0+0+0:vgprValuB_X3_I0+0+0+0+1], v[vgprValuA_X3_I0+12+0+0:vgprValuA_X3_I0+12+0+0+1], a[24:27]
/*  mfmaIndex:175  */
v_mfma_f32_16x16x32_bf8_bf8 a[28+0:31+0], v[vgprValuB_X3_I0+0+0+0:vgprValuB_X3_I0+0+0+0+1], v[vgprValuA_X3_I0+14+0+0:vgprValuA_X3_I0+14+0+0+1], a[28:31]
/*  mfmaIndex:176  */
v_mfma_f32_16x16x32_bf8_bf8 a[60+0:63+0], v[vgprValuB_X3_I0+2+0+0:vgprValuB_X3_I0+2+0+0+1], v[vgprValuA_X3_I0+14+0+0:vgprValuA_X3_I0+14+0+0+1], a[60:63]
/*  mfmaIndex:177  */
v_mfma_f32_16x16x32_bf8_bf8 a[56+0:59+0], v[vgprValuB_X3_I0+2+0+0:vgprValuB_X3_I0+2+0+0+1], v[vgprValuA_X3_I0+12+0+0:vgprValuA_X3_I0+12+0+0+1], a[56:59]
/*  mfmaIndex:178  */
v_mfma_f32_16x16x32_bf8_bf8 a[52+0:55+0], v[vgprValuB_X3_I0+2+0+0:vgprValuB_X3_I0+2+0+0+1], v[vgprValuA_X3_I0+10+0+0:vgprValuA_X3_I0+10+0+0+1], a[52:55]
/*  mfmaIndex:179  */
v_mfma_f32_16x16x32_bf8_bf8 a[48+0:51+0], v[vgprValuB_X3_I0+2+0+0:vgprValuB_X3_I0+2+0+0+1], v[vgprValuA_X3_I0+8+0+0:vgprValuA_X3_I0+8+0+0+1], a[48:51]
/*  mfmaIndex:180  */
v_mfma_f32_16x16x32_bf8_bf8 a[44+0:47+0], v[vgprValuB_X3_I0+2+0+0:vgprValuB_X3_I0+2+0+0+1], v[vgprValuA_X3_I0+6+0+0:vgprValuA_X3_I0+6+0+0+1], a[44:47]
/*  mfmaIndex:181  */
v_mfma_f32_16x16x32_bf8_bf8 a[40+0:43+0], v[vgprValuB_X3_I0+2+0+0:vgprValuB_X3_I0+2+0+0+1], v[vgprValuA_X3_I0+4+0+0:vgprValuA_X3_I0+4+0+0+1], a[40:43]
/*  mfmaIndex:182  */
v_mfma_f32_16x16x32_bf8_bf8 a[36+0:39+0], v[vgprValuB_X3_I0+2+0+0:vgprValuB_X3_I0+2+0+0+1], v[vgprValuA_X3_I0+2+0+0:vgprValuA_X3_I0+2+0+0+1], a[36:39]
/*  mfmaIndex:183  */
v_mfma_f32_16x16x32_bf8_bf8 a[32+0:35+0], v[vgprValuB_X3_I0+2+0+0:vgprValuB_X3_I0+2+0+0+1], v[vgprValuA_X3_I0+0+0+0:vgprValuA_X3_I0+0+0+0+1], a[32:35]
/*  mfmaIndex:184  */
v_mfma_f32_16x16x32_bf8_bf8 a[64+0:67+0], v[vgprValuB_X3_I0+4+0+0:vgprValuB_X3_I0+4+0+0+1], v[vgprValuA_X3_I0+0+0+0:vgprValuA_X3_I0+0+0+0+1], a[64:67]
/*  mfmaIndex:185  */
v_mfma_f32_16x16x32_bf8_bf8 a[68+0:71+0], v[vgprValuB_X3_I0+4+0+0:vgprValuB_X3_I0+4+0+0+1], v[vgprValuA_X3_I0+2+0+0:vgprValuA_X3_I0+2+0+0+1], a[68:71]
/*  mfmaIndex:186  */
v_mfma_f32_16x16x32_bf8_bf8 a[72+0:75+0], v[vgprValuB_X3_I0+4+0+0:vgprValuB_X3_I0+4+0+0+1], v[vgprValuA_X3_I0+4+0+0:vgprValuA_X3_I0+4+0+0+1], a[72:75]
/*  mfmaIndex:187  */
v_mfma_f32_16x16x32_bf8_bf8 a[76+0:79+0], v[vgprValuB_X3_I0+4+0+0:vgprValuB_X3_I0+4+0+0+1], v[vgprValuA_X3_I0+6+0+0:vgprValuA_X3_I0+6+0+0+1], a[76:79]
/*  mfmaIndex:188  */
v_mfma_f32_16x16x32_bf8_bf8 a[80+0:83+0], v[vgprValuB_X3_I0+4+0+0:vgprValuB_X3_I0+4+0+0+1], v[vgprValuA_X3_I0+8+0+0:vgprValuA_X3_I0+8+0+0+1], a[80:83]
/*  mfmaIndex:189  */
v_mfma_f32_16x16x32_bf8_bf8 a[84+0:87+0], v[vgprValuB_X3_I0+4+0+0:vgprValuB_X3_I0+4+0+0+1], v[vgprValuA_X3_I0+10+0+0:vgprValuA_X3_I0+10+0+0+1], a[84:87]
/*  mfmaIndex:190  */
v_mfma_f32_16x16x32_bf8_bf8 a[88+0:91+0], v[vgprValuB_X3_I0+4+0+0:vgprValuB_X3_I0+4+0+0+1], v[vgprValuA_X3_I0+12+0+0:vgprValuA_X3_I0+12+0+0+1], a[88:91]
/*  mfmaIndex:191  */
v_mfma_f32_16x16x32_bf8_bf8 a[92+0:95+0], v[vgprValuB_X3_I0+4+0+0:vgprValuB_X3_I0+4+0+0+1], v[vgprValuA_X3_I0+14+0+0:vgprValuA_X3_I0+14+0+0+1], a[92:95]
/*  mfmaIndex:192  */
v_mfma_f32_16x16x32_bf8_bf8 a[124+0:127+0], v[vgprValuB_X3_I0+6+0+0:vgprValuB_X3_I0+6+0+0+1], v[vgprValuA_X3_I0+14+0+0:vgprValuA_X3_I0+14+0+0+1], a[124:127]
/*  mfmaIndex:193  */
v_mfma_f32_16x16x32_bf8_bf8 a[120+0:123+0], v[vgprValuB_X3_I0+6+0+0:vgprValuB_X3_I0+6+0+0+1], v[vgprValuA_X3_I0+12+0+0:vgprValuA_X3_I0+12+0+0+1], a[120:123]
/*  mfmaIndex:194  */
v_mfma_f32_16x16x32_bf8_bf8 a[116+0:119+0], v[vgprValuB_X3_I0+6+0+0:vgprValuB_X3_I0+6+0+0+1], v[vgprValuA_X3_I0+10+0+0:vgprValuA_X3_I0+10+0+0+1], a[116:119]
/*  mfmaIndex:195  */
v_mfma_f32_16x16x32_bf8_bf8 a[112+0:115+0], v[vgprValuB_X3_I0+6+0+0:vgprValuB_X3_I0+6+0+0+1], v[vgprValuA_X3_I0+8+0+0:vgprValuA_X3_I0+8+0+0+1], a[112:115]
/*  mfmaIndex:196  */
v_mfma_f32_16x16x32_bf8_bf8 a[108+0:111+0], v[vgprValuB_X3_I0+6+0+0:vgprValuB_X3_I0+6+0+0+1], v[vgprValuA_X3_I0+6+0+0:vgprValuA_X3_I0+6+0+0+1], a[108:111]
/*  mfmaIndex:197  */
/* 1 LDS buffer: read-sync-write */
s_waitcnt lgkmcnt(0)                               // 
s_barrier                                          // 
v_mfma_f32_16x16x32_bf8_bf8 a[104+0:107+0], v[vgprValuB_X3_I0+6+0+0:vgprValuB_X3_I0+6+0+0+1], v[vgprValuA_X3_I0+4+0+0:vgprValuA_X3_I0+4+0+0+1], a[104:107]
/*  mfmaIndex:198  */
s_setprio 3                                        // store optimization
v_mfma_f32_16x16x32_bf8_bf8 a[100+0:103+0], v[vgprValuB_X3_I0+6+0+0:vgprValuB_X3_I0+6+0+0+1], v[vgprValuA_X3_I0+2+0+0:vgprValuA_X3_I0+2+0+0+1], a[100:103]
/*  mfmaIndex:199  */
v_mfma_f32_16x16x32_bf8_bf8 a[96+0:99+0], v[vgprValuB_X3_I0+6+0+0:vgprValuB_X3_I0+6+0+0+1], v[vgprValuA_X3_I0+0+0+0:vgprValuA_X3_I0+0+0+0+1], a[96:99]
/*  mfmaIndex:200  */
	;; [unrolled: 2-line block ×4, first 2 shown]
v_mfma_f32_16x16x32_bf8_bf8 a[136+0:139+0], v[vgprValuB_X3_I0+8+0+0:vgprValuB_X3_I0+8+0+0+1], v[vgprValuA_X3_I0+4+0+0:vgprValuA_X3_I0+4+0+0+1], a[136:139]
s_setprio 0                                        // store optimization
/*  mfmaIndex:203  */
v_mfma_f32_16x16x32_bf8_bf8 a[140+0:143+0], v[vgprValuB_X3_I0+8+0+0:vgprValuB_X3_I0+8+0+0+1], v[vgprValuA_X3_I0+6+0+0:vgprValuA_X3_I0+6+0+0+1], a[140:143]
/*  mfmaIndex:204  */
s_setprio 3                                        // store optimization
v_mfma_f32_16x16x32_bf8_bf8 a[144+0:147+0], v[vgprValuB_X3_I0+8+0+0:vgprValuB_X3_I0+8+0+0+1], v[vgprValuA_X3_I0+8+0+0:vgprValuA_X3_I0+8+0+0+1], a[144:147]
/*  mfmaIndex:205  */
v_mfma_f32_16x16x32_bf8_bf8 a[148+0:151+0], v[vgprValuB_X3_I0+8+0+0:vgprValuB_X3_I0+8+0+0+1], v[vgprValuA_X3_I0+10+0+0:vgprValuA_X3_I0+10+0+0+1], a[148:151]
/*  mfmaIndex:206  */
	;; [unrolled: 2-line block ×19, first 2 shown]
v_mfma_f32_16x16x32_bf8_bf8 a[220+0:223+0], v[vgprValuB_X3_I0+12+0+0:vgprValuB_X3_I0+12+0+0+1], v[vgprValuA_X3_I0+14+0+0:vgprValuA_X3_I0+14+0+0+1], a[220:223]
/* numPrefetchIter=0 */
/* dataAtIterA=2 numReadsIterA=3 skipReadsIterA=0 readsPerIterA=8 */
/* dataAtIterB=2 numReadsIterB=3 skipReadsIterB=0 readsPerIterB=7 */

PrefetchGlobalLastIterEnd_5:

Summation_End_28:
s_setprio 0                                        // optimization store
/* endSummation: add vgpr [0...242) to pool */
.set NumFullBlocks, UNDEF
.set WgmRemainder1, UNDEF
.set MagicNumberWgmRemainder1, UNDEF

/* Mapping of Acc register -> C Vgpr register */


	;; [unrolled: 1-line block ×3, first 2 shown]
/* not-LocalSplitU: global write indices */

/* computeStoreVgprs */
v_lshrrev_b32 v4, 6, v[vgprSerial]                 // v4 = v[vgprSerial] / 64
v_and_b32 v1, 63, v[vgprSerial]                    // v1 = v[vgprSerial] % 64
v_lshrrev_b32 v1, 4, v1                            // v1 = v1 / 16
v_lshlrev_b32 v1, 0x2, v1                          // thread0 * continuous_output
v_lshrrev_b32 v5, 1, v4                            // v5 = v4 / 2
v_mul_lo_u32 v5, 0x10, v5                          // wave coordination offset 1
_v_add_lshl_u32 v1, v5, v1, 0                      // coordination 1 = vwb *(wave_id1 + tid1)
v_mul_lo_u32 v2, v1, s[sgprStrideC1J]              //  offset 1
v_mul_lo_u32 v3, v1, s[sgprStrideD1J]              //  offset 1
v_and_b32 v5, 1, v4                                // v5 = v4 % 2
v_mul_lo_u32 v5, 0x10, v5                          // wave coordination offset 0
v_and_b32 v0, 15, v[vgprSerial]                    // v0 = v[vgprSerial] % 16
_v_add_lshl_u32 v0, v5, v0, 3                      // coordination 0 = vwa *(wave_id0 + tid0)
s_mul_i32 s53, 256, s[sgprWorkGroup0]              // wgp0 * MT0
_v_add_u32 v0, s53, v0                             // coord 0 = (tid0/MI_m)*4 + waveG0*MIB_m + MT0*SG0
s_mul_i32 s53, 224, s[sgprWorkGroup1]              // wgp1 * MT1
_v_add_u32 v1, s53, v1                             // coord 1 = (tid0%MI_m) + waveG1*MIB_n + MT1*SG1


/* not-LocalSplitU: global write */

s_cmpk_eq_u32 s[sgprBeta], 0x0                     // Beta == 0
s_cbranch_scc0 GW_Beta_43                          // Branch if Beta is not zero

s_and_b32 s54, 255, s[sgprSizeI]                   // s54 = s[sgprSizeI] % 256
s_add_u32 s55, -0x1, s[sgprNumWorkGroups0]         // 
s_cmp_ge_u32 s[sgprWorkGroup0], s55                // wg0 >= nwg0-1 ?
s_cselect_b32 s54, s54, 0                          // set rMT0
s_cmpk_gt_u32 s54, 0x0                             // rMT0 > 0
s_cbranch_scc1 GW_B0_E1_34                         // jump if edges required
s_mov_b32 s57, 0x0                                 // STATIC_DIV: divisior=224
s_mul_i32 s56, 0x249, s[sgprSizeJ]                 // tmp1 = dividend * magic hi
s_lshl_b64 s[56:57], s[56:57], 0x10                // left shift 16 bits
s_mul_i32 s55, s[sgprSizeJ], 0x2493                // tmp0 = dividend * magic lo
s_add_u32 s56, s55, s56                            // add lo
s_addc_u32 s57, s57, 0x0                           // add hi
s_lshr_b64 s[56:57], s[56:57], 0x21                // tmp1 = (dividend * magic) << shift
s_mov_b32 s55, s56                                 // quotient
s_mul_i32 s56, s55, 0xe0                           // quotient*divisor
s_sub_u32 s54, s[sgprSizeJ], s56                   // rReg = dividend - quotient*divisor
s_add_u32 s55, -0x1, s[sgprNumWorkGroups1]         // 
s_cmp_ge_u32 s[sgprWorkGroup1], s55                // wg1 >= nwg1-1
s_cselect_b32 s54, s54, 0                          // set rMT1
s_cmpk_gt_u32 s54, 0x0                             // rMT1 > 0
s_cbranch_scc1 GW_B0_E1_34                         // jump if edges required
GW_B0_E0_31:

/* edge=0, allocate 2 sgpr. perBatchTmpS=2 perBatchMaskS=0 perElementMaskS=0 elementsPerBatch=29 */
/* optSingleColVgpr=1 optSharedColVgpr=0 optSGPRUsage=BufferLoad_Mask optSrdIncForRow=1 */

/******************************************/
/* Global Write Alpha Batch #0 (d1,d0,vc1,vc0) = */
/*    (0,0,0,0:vw8); (0,0,1,0:vw8); (0,0,2,0:vw8); (0,0,3,0:vw8); (1,0,0,0:vw8); (1,0,1,0:vw8); (1,0,2,0:vw8); (1,0,3,0:vw8); (2,0,0,0:vw8); (2,0,1,0:vw8); (2,0,2,0:vw8); (2,0,3,0:vw8); (3,0,0,0:vw8); (3,0,1,0:vw8); (3,0,2,0:vw8); (3,0,3,0:vw8); (4,0,0,0:vw8); (4,0,1,0:vw8); (4,0,2,0:vw8); (4,0,3,0:vw8); (5,0,0,0:vw8); (5,0,1,0:vw8); (5,0,2,0:vw8); (5,0,3,0:vw8); (6,0,0,0:vw8); (6,0,1,0:vw8); (6,0,2,0:vw8); (6,0,3,0:vw8) */
/******************************************/

/* calc coords, apply mask, and issue loads (if necessary) */
/* (d1,vc1,d0,vc0)=(0,0,0,0) */
/* (d1,vc1,d0,vc0)=(0,1,0,0) */
	;; [unrolled: 1-line block ×28, first 2 shown]
_v_add_lshl_u32 v11, v3, v0, 0x0                   // optSingleColVgpr scaleToBpe: sharedAddrVgpr <- cinRowPtr + coord0, scaled by BPE. BSHERE:coord0=0, coord0Vgpr=0
v_accvgpr_read_b32 v[vgprValuC+16], acc0 // copy acc to vreg[0]
v_accvgpr_read_b32 v[vgprValuC+17], acc4 // copy acc to vreg[1]
v_accvgpr_read_b32 v[vgprValuC+18], acc8 // copy acc to vreg[2]
v_accvgpr_read_b32 v[vgprValuC+19], acc12 // copy acc to vreg[3]
v_accvgpr_read_b32 v[vgprValuC+20], acc16 // copy acc to vreg[4]
v_accvgpr_read_b32 v[vgprValuC+21], acc20 // copy acc to vreg[5]
v_accvgpr_read_b32 v[vgprValuC+22], acc24 // copy acc to vreg[6]
v_accvgpr_read_b32 v[vgprValuC+23], acc28 // copy acc to vreg[7]
v_accvgpr_read_b32 v[vgprValuC+24], acc1 // copy acc to vreg[8]
v_accvgpr_read_b32 v[vgprValuC+25], acc5 // copy acc to vreg[9]
v_accvgpr_read_b32 v[vgprValuC+26], acc9 // copy acc to vreg[10]
v_accvgpr_read_b32 v[vgprValuC+27], acc13 // copy acc to vreg[11]
v_accvgpr_read_b32 v[vgprValuC+28], acc17 // copy acc to vreg[12]
v_accvgpr_read_b32 v[vgprValuC+29], acc21 // copy acc to vreg[13]
v_accvgpr_read_b32 v[vgprValuC+30], acc25 // copy acc to vreg[14]
v_accvgpr_read_b32 v[vgprValuC+31], acc29 // copy acc to vreg[15]
v_accvgpr_read_b32 v[vgprValuC+32], acc2 // copy acc to vreg[16]
v_accvgpr_read_b32 v[vgprValuC+33], acc6 // copy acc to vreg[17]
v_accvgpr_read_b32 v[vgprValuC+34], acc10 // copy acc to vreg[18]
v_accvgpr_read_b32 v[vgprValuC+35], acc14 // copy acc to vreg[19]
v_accvgpr_read_b32 v[vgprValuC+36], acc18 // copy acc to vreg[20]
v_accvgpr_read_b32 v[vgprValuC+37], acc22 // copy acc to vreg[21]
v_accvgpr_read_b32 v[vgprValuC+38], acc26 // copy acc to vreg[22]
v_accvgpr_read_b32 v[vgprValuC+39], acc30 // copy acc to vreg[23]
v_accvgpr_read_b32 v[vgprValuC+40], acc3 // copy acc to vreg[24]
v_accvgpr_read_b32 v[vgprValuC+41], acc7 // copy acc to vreg[25]
v_accvgpr_read_b32 v[vgprValuC+42], acc11 // copy acc to vreg[26]
v_accvgpr_read_b32 v[vgprValuC+43], acc15 // copy acc to vreg[27]
v_accvgpr_read_b32 v[vgprValuC+44], acc19 // copy acc to vreg[28]
v_accvgpr_read_b32 v[vgprValuC+45], acc23 // copy acc to vreg[29]
v_accvgpr_read_b32 v[vgprValuC+46], acc27 // copy acc to vreg[30]
v_accvgpr_read_b32 v[vgprValuC+47], acc31 // copy acc to vreg[31]
v_accvgpr_read_b32 v[vgprValuC+48], acc32 // copy acc to vreg[32]
v_accvgpr_read_b32 v[vgprValuC+49], acc36 // copy acc to vreg[33]
v_accvgpr_read_b32 v[vgprValuC+50], acc40 // copy acc to vreg[34]
v_accvgpr_read_b32 v[vgprValuC+51], acc44 // copy acc to vreg[35]
v_accvgpr_read_b32 v[vgprValuC+52], acc48 // copy acc to vreg[36]
v_accvgpr_read_b32 v[vgprValuC+53], acc52 // copy acc to vreg[37]
v_accvgpr_read_b32 v[vgprValuC+54], acc56 // copy acc to vreg[38]
v_accvgpr_read_b32 v[vgprValuC+55], acc60 // copy acc to vreg[39]
v_accvgpr_read_b32 v[vgprValuC+56], acc33 // copy acc to vreg[40]
v_accvgpr_read_b32 v[vgprValuC+57], acc37 // copy acc to vreg[41]
v_accvgpr_read_b32 v[vgprValuC+58], acc41 // copy acc to vreg[42]
v_accvgpr_read_b32 v[vgprValuC+59], acc45 // copy acc to vreg[43]
v_accvgpr_read_b32 v[vgprValuC+60], acc49 // copy acc to vreg[44]
v_accvgpr_read_b32 v[vgprValuC+61], acc53 // copy acc to vreg[45]
v_accvgpr_read_b32 v[vgprValuC+62], acc57 // copy acc to vreg[46]
v_accvgpr_read_b32 v[vgprValuC+63], acc61 // copy acc to vreg[47]
v_accvgpr_read_b32 v[vgprValuC+64], acc34 // copy acc to vreg[48]
v_accvgpr_read_b32 v[vgprValuC+65], acc38 // copy acc to vreg[49]
v_accvgpr_read_b32 v[vgprValuC+66], acc42 // copy acc to vreg[50]
v_accvgpr_read_b32 v[vgprValuC+67], acc46 // copy acc to vreg[51]
v_accvgpr_read_b32 v[vgprValuC+68], acc50 // copy acc to vreg[52]
v_accvgpr_read_b32 v[vgprValuC+69], acc54 // copy acc to vreg[53]
v_accvgpr_read_b32 v[vgprValuC+70], acc58 // copy acc to vreg[54]
v_accvgpr_read_b32 v[vgprValuC+71], acc62 // copy acc to vreg[55]
v_accvgpr_read_b32 v[vgprValuC+72], acc35 // copy acc to vreg[56]
v_accvgpr_read_b32 v[vgprValuC+73], acc39 // copy acc to vreg[57]
v_accvgpr_read_b32 v[vgprValuC+74], acc43 // copy acc to vreg[58]
v_accvgpr_read_b32 v[vgprValuC+75], acc47 // copy acc to vreg[59]
v_accvgpr_read_b32 v[vgprValuC+76], acc51 // copy acc to vreg[60]
v_accvgpr_read_b32 v[vgprValuC+77], acc55 // copy acc to vreg[61]
v_accvgpr_read_b32 v[vgprValuC+78], acc59 // copy acc to vreg[62]
v_accvgpr_read_b32 v[vgprValuC+79], acc63 // copy acc to vreg[63]
v_accvgpr_read_b32 v[vgprValuC+80], acc64 // copy acc to vreg[64]
v_accvgpr_read_b32 v[vgprValuC+81], acc68 // copy acc to vreg[65]
v_accvgpr_read_b32 v[vgprValuC+82], acc72 // copy acc to vreg[66]
v_accvgpr_read_b32 v[vgprValuC+83], acc76 // copy acc to vreg[67]
v_accvgpr_read_b32 v[vgprValuC+84], acc80 // copy acc to vreg[68]
v_accvgpr_read_b32 v[vgprValuC+85], acc84 // copy acc to vreg[69]
v_accvgpr_read_b32 v[vgprValuC+86], acc88 // copy acc to vreg[70]
v_accvgpr_read_b32 v[vgprValuC+87], acc92 // copy acc to vreg[71]
v_accvgpr_read_b32 v[vgprValuC+88], acc65 // copy acc to vreg[72]
v_accvgpr_read_b32 v[vgprValuC+89], acc69 // copy acc to vreg[73]
v_accvgpr_read_b32 v[vgprValuC+90], acc73 // copy acc to vreg[74]
v_accvgpr_read_b32 v[vgprValuC+91], acc77 // copy acc to vreg[75]
v_accvgpr_read_b32 v[vgprValuC+92], acc81 // copy acc to vreg[76]
v_accvgpr_read_b32 v[vgprValuC+93], acc85 // copy acc to vreg[77]
v_accvgpr_read_b32 v[vgprValuC+94], acc89 // copy acc to vreg[78]
v_accvgpr_read_b32 v[vgprValuC+95], acc93 // copy acc to vreg[79]
v_accvgpr_read_b32 v[vgprValuC+96], acc66 // copy acc to vreg[80]
v_accvgpr_read_b32 v[vgprValuC+97], acc70 // copy acc to vreg[81]
v_accvgpr_read_b32 v[vgprValuC+98], acc74 // copy acc to vreg[82]
v_accvgpr_read_b32 v[vgprValuC+99], acc78 // copy acc to vreg[83]
v_accvgpr_read_b32 v[vgprValuC+100], acc82 // copy acc to vreg[84]
v_accvgpr_read_b32 v[vgprValuC+101], acc86 // copy acc to vreg[85]
v_accvgpr_read_b32 v[vgprValuC+102], acc90 // copy acc to vreg[86]
v_accvgpr_read_b32 v[vgprValuC+103], acc94 // copy acc to vreg[87]
v_accvgpr_read_b32 v[vgprValuC+104], acc67 // copy acc to vreg[88]
v_accvgpr_read_b32 v[vgprValuC+105], acc71 // copy acc to vreg[89]
v_accvgpr_read_b32 v[vgprValuC+106], acc75 // copy acc to vreg[90]
v_accvgpr_read_b32 v[vgprValuC+107], acc79 // copy acc to vreg[91]
v_accvgpr_read_b32 v[vgprValuC+108], acc83 // copy acc to vreg[92]
v_accvgpr_read_b32 v[vgprValuC+109], acc87 // copy acc to vreg[93]
v_accvgpr_read_b32 v[vgprValuC+110], acc91 // copy acc to vreg[94]
v_accvgpr_read_b32 v[vgprValuC+111], acc95 // copy acc to vreg[95]
v_accvgpr_read_b32 v[vgprValuC+112], acc96 // copy acc to vreg[96]
v_accvgpr_read_b32 v[vgprValuC+113], acc100 // copy acc to vreg[97]
v_accvgpr_read_b32 v[vgprValuC+114], acc104 // copy acc to vreg[98]
v_accvgpr_read_b32 v[vgprValuC+115], acc108 // copy acc to vreg[99]
v_accvgpr_read_b32 v[vgprValuC+116], acc112 // copy acc to vreg[100]
v_accvgpr_read_b32 v[vgprValuC+117], acc116 // copy acc to vreg[101]
v_accvgpr_read_b32 v[vgprValuC+118], acc120 // copy acc to vreg[102]
v_accvgpr_read_b32 v[vgprValuC+119], acc124 // copy acc to vreg[103]
v_accvgpr_read_b32 v[vgprValuC+120], acc97 // copy acc to vreg[104]
v_accvgpr_read_b32 v[vgprValuC+121], acc101 // copy acc to vreg[105]
v_accvgpr_read_b32 v[vgprValuC+122], acc105 // copy acc to vreg[106]
v_accvgpr_read_b32 v[vgprValuC+123], acc109 // copy acc to vreg[107]
v_accvgpr_read_b32 v[vgprValuC+124], acc113 // copy acc to vreg[108]
v_accvgpr_read_b32 v[vgprValuC+125], acc117 // copy acc to vreg[109]
v_accvgpr_read_b32 v[vgprValuC+126], acc121 // copy acc to vreg[110]
v_accvgpr_read_b32 v[vgprValuC+127], acc125 // copy acc to vreg[111]
v_accvgpr_read_b32 v[vgprValuC+128], acc98 // copy acc to vreg[112]
v_accvgpr_read_b32 v[vgprValuC+129], acc102 // copy acc to vreg[113]
v_accvgpr_read_b32 v[vgprValuC+130], acc106 // copy acc to vreg[114]
v_accvgpr_read_b32 v[vgprValuC+131], acc110 // copy acc to vreg[115]
v_accvgpr_read_b32 v[vgprValuC+132], acc114 // copy acc to vreg[116]
v_accvgpr_read_b32 v[vgprValuC+133], acc118 // copy acc to vreg[117]
v_accvgpr_read_b32 v[vgprValuC+134], acc122 // copy acc to vreg[118]
v_accvgpr_read_b32 v[vgprValuC+135], acc126 // copy acc to vreg[119]
v_accvgpr_read_b32 v[vgprValuC+136], acc99 // copy acc to vreg[120]
v_accvgpr_read_b32 v[vgprValuC+137], acc103 // copy acc to vreg[121]
v_accvgpr_read_b32 v[vgprValuC+138], acc107 // copy acc to vreg[122]
v_accvgpr_read_b32 v[vgprValuC+139], acc111 // copy acc to vreg[123]
v_accvgpr_read_b32 v[vgprValuC+140], acc115 // copy acc to vreg[124]
v_accvgpr_read_b32 v[vgprValuC+141], acc119 // copy acc to vreg[125]
v_accvgpr_read_b32 v[vgprValuC+142], acc123 // copy acc to vreg[126]
v_accvgpr_read_b32 v[vgprValuC+143], acc127 // copy acc to vreg[127]
v_accvgpr_read_b32 v[vgprValuC+144], acc128 // copy acc to vreg[128]
v_accvgpr_read_b32 v[vgprValuC+145], acc132 // copy acc to vreg[129]
v_accvgpr_read_b32 v[vgprValuC+146], acc136 // copy acc to vreg[130]
v_accvgpr_read_b32 v[vgprValuC+147], acc140 // copy acc to vreg[131]
v_accvgpr_read_b32 v[vgprValuC+148], acc144 // copy acc to vreg[132]
v_accvgpr_read_b32 v[vgprValuC+149], acc148 // copy acc to vreg[133]
v_accvgpr_read_b32 v[vgprValuC+150], acc152 // copy acc to vreg[134]
v_accvgpr_read_b32 v[vgprValuC+151], acc156 // copy acc to vreg[135]
v_accvgpr_read_b32 v[vgprValuC+152], acc129 // copy acc to vreg[136]
v_accvgpr_read_b32 v[vgprValuC+153], acc133 // copy acc to vreg[137]
v_accvgpr_read_b32 v[vgprValuC+154], acc137 // copy acc to vreg[138]
v_accvgpr_read_b32 v[vgprValuC+155], acc141 // copy acc to vreg[139]
v_accvgpr_read_b32 v[vgprValuC+156], acc145 // copy acc to vreg[140]
v_accvgpr_read_b32 v[vgprValuC+157], acc149 // copy acc to vreg[141]
v_accvgpr_read_b32 v[vgprValuC+158], acc153 // copy acc to vreg[142]
v_accvgpr_read_b32 v[vgprValuC+159], acc157 // copy acc to vreg[143]
v_accvgpr_read_b32 v[vgprValuC+160], acc130 // copy acc to vreg[144]
v_accvgpr_read_b32 v[vgprValuC+161], acc134 // copy acc to vreg[145]
v_accvgpr_read_b32 v[vgprValuC+162], acc138 // copy acc to vreg[146]
v_accvgpr_read_b32 v[vgprValuC+163], acc142 // copy acc to vreg[147]
v_accvgpr_read_b32 v[vgprValuC+164], acc146 // copy acc to vreg[148]
v_accvgpr_read_b32 v[vgprValuC+165], acc150 // copy acc to vreg[149]
v_accvgpr_read_b32 v[vgprValuC+166], acc154 // copy acc to vreg[150]
v_accvgpr_read_b32 v[vgprValuC+167], acc158 // copy acc to vreg[151]
v_accvgpr_read_b32 v[vgprValuC+168], acc131 // copy acc to vreg[152]
v_accvgpr_read_b32 v[vgprValuC+169], acc135 // copy acc to vreg[153]
v_accvgpr_read_b32 v[vgprValuC+170], acc139 // copy acc to vreg[154]
v_accvgpr_read_b32 v[vgprValuC+171], acc143 // copy acc to vreg[155]
v_accvgpr_read_b32 v[vgprValuC+172], acc147 // copy acc to vreg[156]
v_accvgpr_read_b32 v[vgprValuC+173], acc151 // copy acc to vreg[157]
v_accvgpr_read_b32 v[vgprValuC+174], acc155 // copy acc to vreg[158]
v_accvgpr_read_b32 v[vgprValuC+175], acc159 // copy acc to vreg[159]
v_accvgpr_read_b32 v[vgprValuC+176], acc160 // copy acc to vreg[160]
v_accvgpr_read_b32 v[vgprValuC+177], acc164 // copy acc to vreg[161]
v_accvgpr_read_b32 v[vgprValuC+178], acc168 // copy acc to vreg[162]
v_accvgpr_read_b32 v[vgprValuC+179], acc172 // copy acc to vreg[163]
v_accvgpr_read_b32 v[vgprValuC+180], acc176 // copy acc to vreg[164]
v_accvgpr_read_b32 v[vgprValuC+181], acc180 // copy acc to vreg[165]
v_accvgpr_read_b32 v[vgprValuC+182], acc184 // copy acc to vreg[166]
v_accvgpr_read_b32 v[vgprValuC+183], acc188 // copy acc to vreg[167]
v_accvgpr_read_b32 v[vgprValuC+184], acc161 // copy acc to vreg[168]
v_accvgpr_read_b32 v[vgprValuC+185], acc165 // copy acc to vreg[169]
v_accvgpr_read_b32 v[vgprValuC+186], acc169 // copy acc to vreg[170]
v_accvgpr_read_b32 v[vgprValuC+187], acc173 // copy acc to vreg[171]
v_accvgpr_read_b32 v[vgprValuC+188], acc177 // copy acc to vreg[172]
v_accvgpr_read_b32 v[vgprValuC+189], acc181 // copy acc to vreg[173]
v_accvgpr_read_b32 v[vgprValuC+190], acc185 // copy acc to vreg[174]
v_accvgpr_read_b32 v[vgprValuC+191], acc189 // copy acc to vreg[175]
v_accvgpr_read_b32 v[vgprValuC+192], acc162 // copy acc to vreg[176]
v_accvgpr_read_b32 v[vgprValuC+193], acc166 // copy acc to vreg[177]
v_accvgpr_read_b32 v[vgprValuC+194], acc170 // copy acc to vreg[178]
v_accvgpr_read_b32 v[vgprValuC+195], acc174 // copy acc to vreg[179]
v_accvgpr_read_b32 v[vgprValuC+196], acc178 // copy acc to vreg[180]
v_accvgpr_read_b32 v[vgprValuC+197], acc182 // copy acc to vreg[181]
v_accvgpr_read_b32 v[vgprValuC+198], acc186 // copy acc to vreg[182]
v_accvgpr_read_b32 v[vgprValuC+199], acc190 // copy acc to vreg[183]
v_accvgpr_read_b32 v[vgprValuC+200], acc163 // copy acc to vreg[184]
v_accvgpr_read_b32 v[vgprValuC+201], acc167 // copy acc to vreg[185]
v_accvgpr_read_b32 v[vgprValuC+202], acc171 // copy acc to vreg[186]
v_accvgpr_read_b32 v[vgprValuC+203], acc175 // copy acc to vreg[187]
v_accvgpr_read_b32 v[vgprValuC+204], acc179 // copy acc to vreg[188]
v_accvgpr_read_b32 v[vgprValuC+205], acc183 // copy acc to vreg[189]
v_accvgpr_read_b32 v[vgprValuC+206], acc187 // copy acc to vreg[190]
v_accvgpr_read_b32 v[vgprValuC+207], acc191 // copy acc to vreg[191]
v_accvgpr_read_b32 v[vgprValuC+208], acc192 // copy acc to vreg[192]
v_accvgpr_read_b32 v[vgprValuC+209], acc196 // copy acc to vreg[193]
v_accvgpr_read_b32 v[vgprValuC+210], acc200 // copy acc to vreg[194]
v_accvgpr_read_b32 v[vgprValuC+211], acc204 // copy acc to vreg[195]
v_accvgpr_read_b32 v[vgprValuC+212], acc208 // copy acc to vreg[196]
v_accvgpr_read_b32 v[vgprValuC+213], acc212 // copy acc to vreg[197]
v_accvgpr_read_b32 v[vgprValuC+214], acc216 // copy acc to vreg[198]
v_accvgpr_read_b32 v[vgprValuC+215], acc220 // copy acc to vreg[199]
v_accvgpr_read_b32 v[vgprValuC+216], acc193 // copy acc to vreg[200]
v_accvgpr_read_b32 v[vgprValuC+217], acc197 // copy acc to vreg[201]
v_accvgpr_read_b32 v[vgprValuC+218], acc201 // copy acc to vreg[202]
v_accvgpr_read_b32 v[vgprValuC+219], acc205 // copy acc to vreg[203]
v_accvgpr_read_b32 v[vgprValuC+220], acc209 // copy acc to vreg[204]
v_accvgpr_read_b32 v[vgprValuC+221], acc213 // copy acc to vreg[205]
v_accvgpr_read_b32 v[vgprValuC+222], acc217 // copy acc to vreg[206]
v_accvgpr_read_b32 v[vgprValuC+223], acc221 // copy acc to vreg[207]
v_accvgpr_read_b32 v[vgprValuC+224], acc194 // copy acc to vreg[208]
v_accvgpr_read_b32 v[vgprValuC+225], acc198 // copy acc to vreg[209]
v_accvgpr_read_b32 v[vgprValuC+226], acc202 // copy acc to vreg[210]
v_accvgpr_read_b32 v[vgprValuC+227], acc206 // copy acc to vreg[211]
v_accvgpr_read_b32 v[vgprValuC+228], acc210 // copy acc to vreg[212]
v_accvgpr_read_b32 v[vgprValuC+229], acc214 // copy acc to vreg[213]
v_accvgpr_read_b32 v[vgprValuC+230], acc218 // copy acc to vreg[214]
v_accvgpr_read_b32 v[vgprValuC+231], acc222 // copy acc to vreg[215]
v_accvgpr_read_b32 v[vgprValuC+232], acc195 // copy acc to vreg[216]
v_accvgpr_read_b32 v[vgprValuC+233], acc199 // copy acc to vreg[217]
v_accvgpr_read_b32 v[vgprValuC+234], acc203 // copy acc to vreg[218]
v_accvgpr_read_b32 v[vgprValuC+235], acc207 // copy acc to vreg[219]
v_accvgpr_read_b32 v[vgprValuC+236], acc211 // copy acc to vreg[220]
v_accvgpr_read_b32 v[vgprValuC+237], acc215 // copy acc to vreg[221]
v_accvgpr_read_b32 v[vgprValuC+238], acc219 // copy acc to vreg[222]
v_accvgpr_read_b32 v[vgprValuC+239], acc223 // copy acc to vreg[223]
s_nop 1                                            // 2 wait states required before reading vgpr

/* rC *= alpha batchElements=[(0, 0, 0, 0), (0, 0, 1, 0), (0, 0, 2, 0), (0, 0, 3, 0), (1, 0, 0, 0), (1, 0, 1, 0), (1, 0, 2, 0), (1, 0, 3, 0), (2, 0, 0, 0), (2, 0, 1, 0), (2, 0, 2, 0), (2, 0, 3, 0), (3, 0, 0, 0), (3, 0, 1, 0), (3, 0, 2, 0), (3, 0, 3, 0), (4, 0, 0, 0), (4, 0, 1, 0), (4, 0, 2, 0), (4, 0, 3, 0), (5, 0, 0, 0), (5, 0, 1, 0), (5, 0, 2, 0), (5, 0, 3, 0), (6, 0, 0, 0), (6, 0, 1, 0), (6, 0, 2, 0), (6, 0, 3, 0)] */
v_mul_f32 v[vgprValuC+16], s[sgprAlpha], v[vgprValuC+16] // *= alpha
v_mul_f32 v[vgprValuC+17], s[sgprAlpha], v[vgprValuC+17] // *= alpha
	;; [unrolled: 1-line block ×224, first 2 shown]

/* apply mask, calc new C and issue writes */
v_mov_b32 v10, 0x207                               // flag for Nan and +/- inf
v_mov_b32 v8, 0x47600000                           // save 57344.0f as max for clipping
v_mov_b32 v9, 0xC7600000                           // save -57344`.0f as min for clipping
v_cmp_class_f32 s[54:55], v[vgprValuC+16], v10     // check NaN and +/-INF
v_med3_f32 v6, v[vgprValuC+16], v8, v9             // Clipping f32 value if exceeds the limit
v_cndmask_b32 v6, v6, v[vgprValuC+16], s[54:55]    // 
v_cmp_class_f32 s[54:55], v[vgprValuC+17], v10     // check NaN and +/-INF
v_med3_f32 v7, v[vgprValuC+17], v8, v9             // Clipping f32 value if exceeds the limit
v_cndmask_b32 v7, v7, v[vgprValuC+17], s[54:55]    // 
v_cvt_pk_bf8_f32  v16, v6, v7 op_sel:[0,0,0]       // convert two f32 accumulated values to fp8 and save it to lo_16[0:15]
v_cmp_class_f32 s[54:55], v[vgprValuC+18], v10     // check NaN and +/-INF
v_med3_f32 v6, v[vgprValuC+18], v8, v9             // Clipping f32 value if exceeds the limit
v_cndmask_b32 v6, v6, v[vgprValuC+18], s[54:55]    // 
v_cmp_class_f32 s[54:55], v[vgprValuC+19], v10     // check NaN and +/-INF
v_med3_f32 v7, v[vgprValuC+19], v8, v9             // Clipping f32 value if exceeds the limit
v_cndmask_b32 v7, v7, v[vgprValuC+19], s[54:55]    // 
v_cvt_pk_bf8_f32  v16, v6, v7 op_sel:[0,0,1]       // convert two f32 accumulated values to fp8 and save it to hi_16[16:31]
v_cmp_class_f32 s[54:55], v[vgprValuC+20], v10     // check NaN and +/-INF
v_med3_f32 v6, v[vgprValuC+20], v8, v9             // Clipping f32 value if exceeds the limit
v_cndmask_b32 v6, v6, v[vgprValuC+20], s[54:55]    // 
v_cmp_class_f32 s[54:55], v[vgprValuC+21], v10     // check NaN and +/-INF
v_med3_f32 v7, v[vgprValuC+21], v8, v9             // Clipping f32 value if exceeds the limit
v_cndmask_b32 v7, v7, v[vgprValuC+21], s[54:55]    // 
v_cvt_pk_bf8_f32  v17, v6, v7 op_sel:[0,0,0]       // convert two f32 accumulated values to fp8 and save it to lo_16[0:15]
v_cmp_class_f32 s[54:55], v[vgprValuC+22], v10     // check NaN and +/-INF
v_med3_f32 v6, v[vgprValuC+22], v8, v9             // Clipping f32 value if exceeds the limit
v_cndmask_b32 v6, v6, v[vgprValuC+22], s[54:55]    // 
v_cmp_class_f32 s[54:55], v[vgprValuC+23], v10     // check NaN and +/-INF
v_med3_f32 v7, v[vgprValuC+23], v8, v9             // Clipping f32 value if exceeds the limit
v_cndmask_b32 v7, v7, v[vgprValuC+23], s[54:55]    // 
v_cvt_pk_bf8_f32  v17, v6, v7 op_sel:[0,0,1]       // convert two f32 accumulated values to fp8 and save it to hi_16[16:31]
_buffer_store_b64 v[16:17], v11, s[sgprSrdD:sgprSrdD+3], 0, offen, offset:0,  sc0 sc1 // store D
v_cmp_class_f32 s[54:55], v[vgprValuC+24], v10     // check NaN and +/-INF
v_med3_f32 v6, v[vgprValuC+24], v8, v9             // Clipping f32 value if exceeds the limit
v_cndmask_b32 v6, v6, v[vgprValuC+24], s[54:55]    // 
v_cmp_class_f32 s[54:55], v[vgprValuC+25], v10     // check NaN and +/-INF
v_med3_f32 v7, v[vgprValuC+25], v8, v9             // Clipping f32 value if exceeds the limit
v_cndmask_b32 v7, v7, v[vgprValuC+25], s[54:55]    // 
v_cvt_pk_bf8_f32  v24, v6, v7 op_sel:[0,0,0]       // convert two f32 accumulated values to fp8 and save it to lo_16[0:15]
v_cmp_class_f32 s[54:55], v[vgprValuC+26], v10     // check NaN and +/-INF
v_med3_f32 v6, v[vgprValuC+26], v8, v9             // Clipping f32 value if exceeds the limit
v_cndmask_b32 v6, v6, v[vgprValuC+26], s[54:55]    // 
v_cmp_class_f32 s[54:55], v[vgprValuC+27], v10     // check NaN and +/-INF
v_med3_f32 v7, v[vgprValuC+27], v8, v9             // Clipping f32 value if exceeds the limit
v_cndmask_b32 v7, v7, v[vgprValuC+27], s[54:55]    // 
v_cvt_pk_bf8_f32  v24, v6, v7 op_sel:[0,0,1]       // convert two f32 accumulated values to fp8 and save it to hi_16[16:31]
v_cmp_class_f32 s[54:55], v[vgprValuC+28], v10     // check NaN and +/-INF
v_med3_f32 v6, v[vgprValuC+28], v8, v9             // Clipping f32 value if exceeds the limit
v_cndmask_b32 v6, v6, v[vgprValuC+28], s[54:55]    // 
v_cmp_class_f32 s[54:55], v[vgprValuC+29], v10     // check NaN and +/-INF
v_med3_f32 v7, v[vgprValuC+29], v8, v9             // Clipping f32 value if exceeds the limit
v_cndmask_b32 v7, v7, v[vgprValuC+29], s[54:55]    // 
v_cvt_pk_bf8_f32  v25, v6, v7 op_sel:[0,0,0]       // convert two f32 accumulated values to fp8 and save it to lo_16[0:15]
v_cmp_class_f32 s[54:55], v[vgprValuC+30], v10     // check NaN and +/-INF
v_med3_f32 v6, v[vgprValuC+30], v8, v9             // Clipping f32 value if exceeds the limit
v_cndmask_b32 v6, v6, v[vgprValuC+30], s[54:55]    // 
v_cmp_class_f32 s[54:55], v[vgprValuC+31], v10     // check NaN and +/-INF
v_med3_f32 v7, v[vgprValuC+31], v8, v9             // Clipping f32 value if exceeds the limit
v_cndmask_b32 v7, v7, v[vgprValuC+31], s[54:55]    // 
v_cvt_pk_bf8_f32  v25, v6, v7 op_sel:[0,0,1]       // convert two f32 accumulated values to fp8 and save it to hi_16[16:31]
s_lshl_b32  s54, s[sgprStrideD1J], 0               // incToNextRow: Scale by BPE
s_add_u32  s[sgprSrdD+0], s[sgprSrdD+0], s54       // incToNextRow: gra SRD += inc(lower)
s_addc_u32  s[sgprSrdD+1], s[sgprSrdD+1], 0        // incToNextRow: gra SRD += inc(upper)
_buffer_store_b64 v[24:25], v11, s[sgprSrdD:sgprSrdD+3], 0, offen, offset:0,  sc0 sc1 // store D
v_cmp_class_f32 s[54:55], v[vgprValuC+32], v10     // check NaN and +/-INF
v_med3_f32 v6, v[vgprValuC+32], v8, v9             // Clipping f32 value if exceeds the limit
v_cndmask_b32 v6, v6, v[vgprValuC+32], s[54:55]    // 
v_cmp_class_f32 s[54:55], v[vgprValuC+33], v10     // check NaN and +/-INF
v_med3_f32 v7, v[vgprValuC+33], v8, v9             // Clipping f32 value if exceeds the limit
v_cndmask_b32 v7, v7, v[vgprValuC+33], s[54:55]    // 
v_cvt_pk_bf8_f32  v32, v6, v7 op_sel:[0,0,0]       // convert two f32 accumulated values to fp8 and save it to lo_16[0:15]
v_cmp_class_f32 s[54:55], v[vgprValuC+34], v10     // check NaN and +/-INF
v_med3_f32 v6, v[vgprValuC+34], v8, v9             // Clipping f32 value if exceeds the limit
v_cndmask_b32 v6, v6, v[vgprValuC+34], s[54:55]    // 
v_cmp_class_f32 s[54:55], v[vgprValuC+35], v10     // check NaN and +/-INF
v_med3_f32 v7, v[vgprValuC+35], v8, v9             // Clipping f32 value if exceeds the limit
v_cndmask_b32 v7, v7, v[vgprValuC+35], s[54:55]    // 
v_cvt_pk_bf8_f32  v32, v6, v7 op_sel:[0,0,1]       // convert two f32 accumulated values to fp8 and save it to hi_16[16:31]
v_cmp_class_f32 s[54:55], v[vgprValuC+36], v10     // check NaN and +/-INF
v_med3_f32 v6, v[vgprValuC+36], v8, v9             // Clipping f32 value if exceeds the limit
v_cndmask_b32 v6, v6, v[vgprValuC+36], s[54:55]    // 
v_cmp_class_f32 s[54:55], v[vgprValuC+37], v10     // check NaN and +/-INF
v_med3_f32 v7, v[vgprValuC+37], v8, v9             // Clipping f32 value if exceeds the limit
v_cndmask_b32 v7, v7, v[vgprValuC+37], s[54:55]    // 
v_cvt_pk_bf8_f32  v33, v6, v7 op_sel:[0,0,0]       // convert two f32 accumulated values to fp8 and save it to lo_16[0:15]
v_cmp_class_f32 s[54:55], v[vgprValuC+38], v10     // check NaN and +/-INF
v_med3_f32 v6, v[vgprValuC+38], v8, v9             // Clipping f32 value if exceeds the limit
v_cndmask_b32 v6, v6, v[vgprValuC+38], s[54:55]    // 
v_cmp_class_f32 s[54:55], v[vgprValuC+39], v10     // check NaN and +/-INF
v_med3_f32 v7, v[vgprValuC+39], v8, v9             // Clipping f32 value if exceeds the limit
v_cndmask_b32 v7, v7, v[vgprValuC+39], s[54:55]    // 
v_cvt_pk_bf8_f32  v33, v6, v7 op_sel:[0,0,1]       // convert two f32 accumulated values to fp8 and save it to hi_16[16:31]
s_lshl_b32  s54, s[sgprStrideD1J], 0               // incToNextRow: Scale by BPE
s_add_u32  s[sgprSrdD+0], s[sgprSrdD+0], s54       // incToNextRow: gra SRD += inc(lower)
s_addc_u32  s[sgprSrdD+1], s[sgprSrdD+1], 0        // incToNextRow: gra SRD += inc(upper)
	;; [unrolled: 32-line block ×3, first 2 shown]
_buffer_store_b64 v[40:41], v11, s[sgprSrdD:sgprSrdD+3], 0, offen, offset:0,  sc0 sc1 // store D
v_cmp_class_f32 s[54:55], v[vgprValuC+48], v10     // check NaN and +/-INF
v_med3_f32 v6, v[vgprValuC+48], v8, v9             // Clipping f32 value if exceeds the limit
v_cndmask_b32 v6, v6, v[vgprValuC+48], s[54:55]    // 
v_cmp_class_f32 s[54:55], v[vgprValuC+49], v10     // check NaN and +/-INF
v_med3_f32 v7, v[vgprValuC+49], v8, v9             // Clipping f32 value if exceeds the limit
v_cndmask_b32 v7, v7, v[vgprValuC+49], s[54:55]    // 
v_cvt_pk_bf8_f32  v48, v6, v7 op_sel:[0,0,0]       // convert two f32 accumulated values to fp8 and save it to lo_16[0:15]
v_cmp_class_f32 s[54:55], v[vgprValuC+50], v10     // check NaN and +/-INF
v_med3_f32 v6, v[vgprValuC+50], v8, v9             // Clipping f32 value if exceeds the limit
v_cndmask_b32 v6, v6, v[vgprValuC+50], s[54:55]    // 
v_cmp_class_f32 s[54:55], v[vgprValuC+51], v10     // check NaN and +/-INF
v_med3_f32 v7, v[vgprValuC+51], v8, v9             // Clipping f32 value if exceeds the limit
v_cndmask_b32 v7, v7, v[vgprValuC+51], s[54:55]    // 
v_cvt_pk_bf8_f32  v48, v6, v7 op_sel:[0,0,1]       // convert two f32 accumulated values to fp8 and save it to hi_16[16:31]
v_cmp_class_f32 s[54:55], v[vgprValuC+52], v10     // check NaN and +/-INF
v_med3_f32 v6, v[vgprValuC+52], v8, v9             // Clipping f32 value if exceeds the limit
v_cndmask_b32 v6, v6, v[vgprValuC+52], s[54:55]    // 
v_cmp_class_f32 s[54:55], v[vgprValuC+53], v10     // check NaN and +/-INF
v_med3_f32 v7, v[vgprValuC+53], v8, v9             // Clipping f32 value if exceeds the limit
v_cndmask_b32 v7, v7, v[vgprValuC+53], s[54:55]    // 
v_cvt_pk_bf8_f32  v49, v6, v7 op_sel:[0,0,0]       // convert two f32 accumulated values to fp8 and save it to lo_16[0:15]
v_cmp_class_f32 s[54:55], v[vgprValuC+54], v10     // check NaN and +/-INF
v_med3_f32 v6, v[vgprValuC+54], v8, v9             // Clipping f32 value if exceeds the limit
v_cndmask_b32 v6, v6, v[vgprValuC+54], s[54:55]    // 
v_cmp_class_f32 s[54:55], v[vgprValuC+55], v10     // check NaN and +/-INF
v_med3_f32 v7, v[vgprValuC+55], v8, v9             // Clipping f32 value if exceeds the limit
v_cndmask_b32 v7, v7, v[vgprValuC+55], s[54:55]    // 
v_cvt_pk_bf8_f32  v49, v6, v7 op_sel:[0,0,1]       // convert two f32 accumulated values to fp8 and save it to hi_16[16:31]
s_mul_i32 s54, s[sgprStrideD1J], 29                // scale StrideD *= numRows(29) * bpe
s_add_u32  s[sgprSrdD+0], s[sgprSrdD+0], s54       // incToNextRow: gra SRD += inc(lower)
s_addc_u32  s[sgprSrdD+1], s[sgprSrdD+1], 0        // incToNextRow: gra SRD += inc(upper)
_buffer_store_b64 v[48:49], v11, s[sgprSrdD:sgprSrdD+3], 0, offen, offset:0,  sc0 sc1 // store D
v_cmp_class_f32 s[54:55], v[vgprValuC+56], v10     // check NaN and +/-INF
v_med3_f32 v6, v[vgprValuC+56], v8, v9             // Clipping f32 value if exceeds the limit
v_cndmask_b32 v6, v6, v[vgprValuC+56], s[54:55]    // 
v_cmp_class_f32 s[54:55], v[vgprValuC+57], v10     // check NaN and +/-INF
v_med3_f32 v7, v[vgprValuC+57], v8, v9             // Clipping f32 value if exceeds the limit
v_cndmask_b32 v7, v7, v[vgprValuC+57], s[54:55]    // 
v_cvt_pk_bf8_f32  v56, v6, v7 op_sel:[0,0,0]       // convert two f32 accumulated values to fp8 and save it to lo_16[0:15]
v_cmp_class_f32 s[54:55], v[vgprValuC+58], v10     // check NaN and +/-INF
v_med3_f32 v6, v[vgprValuC+58], v8, v9             // Clipping f32 value if exceeds the limit
v_cndmask_b32 v6, v6, v[vgprValuC+58], s[54:55]    // 
v_cmp_class_f32 s[54:55], v[vgprValuC+59], v10     // check NaN and +/-INF
v_med3_f32 v7, v[vgprValuC+59], v8, v9             // Clipping f32 value if exceeds the limit
v_cndmask_b32 v7, v7, v[vgprValuC+59], s[54:55]    // 
v_cvt_pk_bf8_f32  v56, v6, v7 op_sel:[0,0,1]       // convert two f32 accumulated values to fp8 and save it to hi_16[16:31]
v_cmp_class_f32 s[54:55], v[vgprValuC+60], v10     // check NaN and +/-INF
v_med3_f32 v6, v[vgprValuC+60], v8, v9             // Clipping f32 value if exceeds the limit
v_cndmask_b32 v6, v6, v[vgprValuC+60], s[54:55]    // 
v_cmp_class_f32 s[54:55], v[vgprValuC+61], v10     // check NaN and +/-INF
v_med3_f32 v7, v[vgprValuC+61], v8, v9             // Clipping f32 value if exceeds the limit
v_cndmask_b32 v7, v7, v[vgprValuC+61], s[54:55]    // 
v_cvt_pk_bf8_f32  v57, v6, v7 op_sel:[0,0,0]       // convert two f32 accumulated values to fp8 and save it to lo_16[0:15]
v_cmp_class_f32 s[54:55], v[vgprValuC+62], v10     // check NaN and +/-INF
v_med3_f32 v6, v[vgprValuC+62], v8, v9             // Clipping f32 value if exceeds the limit
v_cndmask_b32 v6, v6, v[vgprValuC+62], s[54:55]    // 
v_cmp_class_f32 s[54:55], v[vgprValuC+63], v10     // check NaN and +/-INF
v_med3_f32 v7, v[vgprValuC+63], v8, v9             // Clipping f32 value if exceeds the limit
v_cndmask_b32 v7, v7, v[vgprValuC+63], s[54:55]    // 
v_cvt_pk_bf8_f32  v57, v6, v7 op_sel:[0,0,1]       // convert two f32 accumulated values to fp8 and save it to hi_16[16:31]
s_lshl_b32  s54, s[sgprStrideD1J], 0               // incToNextRow: Scale by BPE
s_add_u32  s[sgprSrdD+0], s[sgprSrdD+0], s54       // incToNextRow: gra SRD += inc(lower)
s_addc_u32  s[sgprSrdD+1], s[sgprSrdD+1], 0        // incToNextRow: gra SRD += inc(upper)
_buffer_store_b64 v[56:57], v11, s[sgprSrdD:sgprSrdD+3], 0, offen, offset:0,  sc0 sc1 // store D
v_cmp_class_f32 s[54:55], v[vgprValuC+64], v10     // check NaN and +/-INF
v_med3_f32 v6, v[vgprValuC+64], v8, v9             // Clipping f32 value if exceeds the limit
v_cndmask_b32 v6, v6, v[vgprValuC+64], s[54:55]    // 
v_cmp_class_f32 s[54:55], v[vgprValuC+65], v10     // check NaN and +/-INF
v_med3_f32 v7, v[vgprValuC+65], v8, v9             // Clipping f32 value if exceeds the limit
v_cndmask_b32 v7, v7, v[vgprValuC+65], s[54:55]    // 
v_cvt_pk_bf8_f32  v64, v6, v7 op_sel:[0,0,0]       // convert two f32 accumulated values to fp8 and save it to lo_16[0:15]
v_cmp_class_f32 s[54:55], v[vgprValuC+66], v10     // check NaN and +/-INF
v_med3_f32 v6, v[vgprValuC+66], v8, v9             // Clipping f32 value if exceeds the limit
v_cndmask_b32 v6, v6, v[vgprValuC+66], s[54:55]    // 
v_cmp_class_f32 s[54:55], v[vgprValuC+67], v10     // check NaN and +/-INF
v_med3_f32 v7, v[vgprValuC+67], v8, v9             // Clipping f32 value if exceeds the limit
v_cndmask_b32 v7, v7, v[vgprValuC+67], s[54:55]    // 
v_cvt_pk_bf8_f32  v64, v6, v7 op_sel:[0,0,1]       // convert two f32 accumulated values to fp8 and save it to hi_16[16:31]
v_cmp_class_f32 s[54:55], v[vgprValuC+68], v10     // check NaN and +/-INF
v_med3_f32 v6, v[vgprValuC+68], v8, v9             // Clipping f32 value if exceeds the limit
v_cndmask_b32 v6, v6, v[vgprValuC+68], s[54:55]    // 
v_cmp_class_f32 s[54:55], v[vgprValuC+69], v10     // check NaN and +/-INF
v_med3_f32 v7, v[vgprValuC+69], v8, v9             // Clipping f32 value if exceeds the limit
v_cndmask_b32 v7, v7, v[vgprValuC+69], s[54:55]    // 
v_cvt_pk_bf8_f32  v65, v6, v7 op_sel:[0,0,0]       // convert two f32 accumulated values to fp8 and save it to lo_16[0:15]
v_cmp_class_f32 s[54:55], v[vgprValuC+70], v10     // check NaN and +/-INF
v_med3_f32 v6, v[vgprValuC+70], v8, v9             // Clipping f32 value if exceeds the limit
v_cndmask_b32 v6, v6, v[vgprValuC+70], s[54:55]    // 
v_cmp_class_f32 s[54:55], v[vgprValuC+71], v10     // check NaN and +/-INF
v_med3_f32 v7, v[vgprValuC+71], v8, v9             // Clipping f32 value if exceeds the limit
v_cndmask_b32 v7, v7, v[vgprValuC+71], s[54:55]    // 
v_cvt_pk_bf8_f32  v65, v6, v7 op_sel:[0,0,1]       // convert two f32 accumulated values to fp8 and save it to hi_16[16:31]
s_lshl_b32  s54, s[sgprStrideD1J], 0               // incToNextRow: Scale by BPE
	;; [unrolled: 32-line block ×3, first 2 shown]
s_add_u32  s[sgprSrdD+0], s[sgprSrdD+0], s54       // incToNextRow: gra SRD += inc(lower)
s_addc_u32  s[sgprSrdD+1], s[sgprSrdD+1], 0        // incToNextRow: gra SRD += inc(upper)
_buffer_store_b64 v[72:73], v11, s[sgprSrdD:sgprSrdD+3], 0, offen, offset:0,  sc0 sc1 // store D
v_cmp_class_f32 s[54:55], v[vgprValuC+80], v10     // check NaN and +/-INF
v_med3_f32 v6, v[vgprValuC+80], v8, v9             // Clipping f32 value if exceeds the limit
v_cndmask_b32 v6, v6, v[vgprValuC+80], s[54:55]    // 
v_cmp_class_f32 s[54:55], v[vgprValuC+81], v10     // check NaN and +/-INF
v_med3_f32 v7, v[vgprValuC+81], v8, v9             // Clipping f32 value if exceeds the limit
v_cndmask_b32 v7, v7, v[vgprValuC+81], s[54:55]    // 
v_cvt_pk_bf8_f32  v80, v6, v7 op_sel:[0,0,0]       // convert two f32 accumulated values to fp8 and save it to lo_16[0:15]
v_cmp_class_f32 s[54:55], v[vgprValuC+82], v10     // check NaN and +/-INF
v_med3_f32 v6, v[vgprValuC+82], v8, v9             // Clipping f32 value if exceeds the limit
v_cndmask_b32 v6, v6, v[vgprValuC+82], s[54:55]    // 
v_cmp_class_f32 s[54:55], v[vgprValuC+83], v10     // check NaN and +/-INF
v_med3_f32 v7, v[vgprValuC+83], v8, v9             // Clipping f32 value if exceeds the limit
v_cndmask_b32 v7, v7, v[vgprValuC+83], s[54:55]    // 
v_cvt_pk_bf8_f32  v80, v6, v7 op_sel:[0,0,1]       // convert two f32 accumulated values to fp8 and save it to hi_16[16:31]
v_cmp_class_f32 s[54:55], v[vgprValuC+84], v10     // check NaN and +/-INF
v_med3_f32 v6, v[vgprValuC+84], v8, v9             // Clipping f32 value if exceeds the limit
v_cndmask_b32 v6, v6, v[vgprValuC+84], s[54:55]    // 
v_cmp_class_f32 s[54:55], v[vgprValuC+85], v10     // check NaN and +/-INF
v_med3_f32 v7, v[vgprValuC+85], v8, v9             // Clipping f32 value if exceeds the limit
v_cndmask_b32 v7, v7, v[vgprValuC+85], s[54:55]    // 
v_cvt_pk_bf8_f32  v81, v6, v7 op_sel:[0,0,0]       // convert two f32 accumulated values to fp8 and save it to lo_16[0:15]
v_cmp_class_f32 s[54:55], v[vgprValuC+86], v10     // check NaN and +/-INF
v_med3_f32 v6, v[vgprValuC+86], v8, v9             // Clipping f32 value if exceeds the limit
v_cndmask_b32 v6, v6, v[vgprValuC+86], s[54:55]    // 
v_cmp_class_f32 s[54:55], v[vgprValuC+87], v10     // check NaN and +/-INF
v_med3_f32 v7, v[vgprValuC+87], v8, v9             // Clipping f32 value if exceeds the limit
v_cndmask_b32 v7, v7, v[vgprValuC+87], s[54:55]    // 
v_cvt_pk_bf8_f32  v81, v6, v7 op_sel:[0,0,1]       // convert two f32 accumulated values to fp8 and save it to hi_16[16:31]
s_mul_i32 s54, s[sgprStrideD1J], 29                // scale StrideD *= numRows(29) * bpe
s_add_u32  s[sgprSrdD+0], s[sgprSrdD+0], s54       // incToNextRow: gra SRD += inc(lower)
s_addc_u32  s[sgprSrdD+1], s[sgprSrdD+1], 0        // incToNextRow: gra SRD += inc(upper)
_buffer_store_b64 v[80:81], v11, s[sgprSrdD:sgprSrdD+3], 0, offen, offset:0,  sc0 sc1 // store D
v_cmp_class_f32 s[54:55], v[vgprValuC+88], v10     // check NaN and +/-INF
v_med3_f32 v6, v[vgprValuC+88], v8, v9             // Clipping f32 value if exceeds the limit
v_cndmask_b32 v6, v6, v[vgprValuC+88], s[54:55]    // 
v_cmp_class_f32 s[54:55], v[vgprValuC+89], v10     // check NaN and +/-INF
v_med3_f32 v7, v[vgprValuC+89], v8, v9             // Clipping f32 value if exceeds the limit
v_cndmask_b32 v7, v7, v[vgprValuC+89], s[54:55]    // 
v_cvt_pk_bf8_f32  v88, v6, v7 op_sel:[0,0,0]       // convert two f32 accumulated values to fp8 and save it to lo_16[0:15]
v_cmp_class_f32 s[54:55], v[vgprValuC+90], v10     // check NaN and +/-INF
v_med3_f32 v6, v[vgprValuC+90], v8, v9             // Clipping f32 value if exceeds the limit
v_cndmask_b32 v6, v6, v[vgprValuC+90], s[54:55]    // 
v_cmp_class_f32 s[54:55], v[vgprValuC+91], v10     // check NaN and +/-INF
v_med3_f32 v7, v[vgprValuC+91], v8, v9             // Clipping f32 value if exceeds the limit
v_cndmask_b32 v7, v7, v[vgprValuC+91], s[54:55]    // 
v_cvt_pk_bf8_f32  v88, v6, v7 op_sel:[0,0,1]       // convert two f32 accumulated values to fp8 and save it to hi_16[16:31]
v_cmp_class_f32 s[54:55], v[vgprValuC+92], v10     // check NaN and +/-INF
v_med3_f32 v6, v[vgprValuC+92], v8, v9             // Clipping f32 value if exceeds the limit
v_cndmask_b32 v6, v6, v[vgprValuC+92], s[54:55]    // 
v_cmp_class_f32 s[54:55], v[vgprValuC+93], v10     // check NaN and +/-INF
v_med3_f32 v7, v[vgprValuC+93], v8, v9             // Clipping f32 value if exceeds the limit
v_cndmask_b32 v7, v7, v[vgprValuC+93], s[54:55]    // 
v_cvt_pk_bf8_f32  v89, v6, v7 op_sel:[0,0,0]       // convert two f32 accumulated values to fp8 and save it to lo_16[0:15]
v_cmp_class_f32 s[54:55], v[vgprValuC+94], v10     // check NaN and +/-INF
v_med3_f32 v6, v[vgprValuC+94], v8, v9             // Clipping f32 value if exceeds the limit
v_cndmask_b32 v6, v6, v[vgprValuC+94], s[54:55]    // 
v_cmp_class_f32 s[54:55], v[vgprValuC+95], v10     // check NaN and +/-INF
v_med3_f32 v7, v[vgprValuC+95], v8, v9             // Clipping f32 value if exceeds the limit
v_cndmask_b32 v7, v7, v[vgprValuC+95], s[54:55]    // 
v_cvt_pk_bf8_f32  v89, v6, v7 op_sel:[0,0,1]       // convert two f32 accumulated values to fp8 and save it to hi_16[16:31]
s_lshl_b32  s54, s[sgprStrideD1J], 0               // incToNextRow: Scale by BPE
s_add_u32  s[sgprSrdD+0], s[sgprSrdD+0], s54       // incToNextRow: gra SRD += inc(lower)
s_addc_u32  s[sgprSrdD+1], s[sgprSrdD+1], 0        // incToNextRow: gra SRD += inc(upper)
_buffer_store_b64 v[88:89], v11, s[sgprSrdD:sgprSrdD+3], 0, offen, offset:0,  sc0 sc1 // store D
v_cmp_class_f32 s[54:55], v[vgprValuC+96], v10     // check NaN and +/-INF
v_med3_f32 v6, v[vgprValuC+96], v8, v9             // Clipping f32 value if exceeds the limit
v_cndmask_b32 v6, v6, v[vgprValuC+96], s[54:55]    // 
v_cmp_class_f32 s[54:55], v[vgprValuC+97], v10     // check NaN and +/-INF
v_med3_f32 v7, v[vgprValuC+97], v8, v9             // Clipping f32 value if exceeds the limit
v_cndmask_b32 v7, v7, v[vgprValuC+97], s[54:55]    // 
v_cvt_pk_bf8_f32  v96, v6, v7 op_sel:[0,0,0]       // convert two f32 accumulated values to fp8 and save it to lo_16[0:15]
v_cmp_class_f32 s[54:55], v[vgprValuC+98], v10     // check NaN and +/-INF
v_med3_f32 v6, v[vgprValuC+98], v8, v9             // Clipping f32 value if exceeds the limit
v_cndmask_b32 v6, v6, v[vgprValuC+98], s[54:55]    // 
v_cmp_class_f32 s[54:55], v[vgprValuC+99], v10     // check NaN and +/-INF
v_med3_f32 v7, v[vgprValuC+99], v8, v9             // Clipping f32 value if exceeds the limit
v_cndmask_b32 v7, v7, v[vgprValuC+99], s[54:55]    // 
v_cvt_pk_bf8_f32  v96, v6, v7 op_sel:[0,0,1]       // convert two f32 accumulated values to fp8 and save it to hi_16[16:31]
v_cmp_class_f32 s[54:55], v[vgprValuC+100], v10    // check NaN and +/-INF
v_med3_f32 v6, v[vgprValuC+100], v8, v9            // Clipping f32 value if exceeds the limit
v_cndmask_b32 v6, v6, v[vgprValuC+100], s[54:55]   // 
v_cmp_class_f32 s[54:55], v[vgprValuC+101], v10    // check NaN and +/-INF
v_med3_f32 v7, v[vgprValuC+101], v8, v9            // Clipping f32 value if exceeds the limit
v_cndmask_b32 v7, v7, v[vgprValuC+101], s[54:55]   // 
v_cvt_pk_bf8_f32  v97, v6, v7 op_sel:[0,0,0]       // convert two f32 accumulated values to fp8 and save it to lo_16[0:15]
v_cmp_class_f32 s[54:55], v[vgprValuC+102], v10    // check NaN and +/-INF
v_med3_f32 v6, v[vgprValuC+102], v8, v9            // Clipping f32 value if exceeds the limit
v_cndmask_b32 v6, v6, v[vgprValuC+102], s[54:55]   // 
v_cmp_class_f32 s[54:55], v[vgprValuC+103], v10    // check NaN and +/-INF
v_med3_f32 v7, v[vgprValuC+103], v8, v9            // Clipping f32 value if exceeds the limit
v_cndmask_b32 v7, v7, v[vgprValuC+103], s[54:55]   // 
v_cvt_pk_bf8_f32  v97, v6, v7 op_sel:[0,0,1]       // convert two f32 accumulated values to fp8 and save it to hi_16[16:31]
s_lshl_b32  s54, s[sgprStrideD1J], 0               // incToNextRow: Scale by BPE
s_add_u32  s[sgprSrdD+0], s[sgprSrdD+0], s54       // incToNextRow: gra SRD += inc(lower)
s_addc_u32  s[sgprSrdD+1], s[sgprSrdD+1], 0        // incToNextRow: gra SRD += inc(upper)
_buffer_store_b64 v[96:97], v11, s[sgprSrdD:sgprSrdD+3], 0, offen, offset:0,  sc0 sc1 // store D
v_cmp_class_f32 s[54:55], v[vgprValuC+104], v10    // check NaN and +/-INF
v_med3_f32 v6, v[vgprValuC+104], v8, v9            // Clipping f32 value if exceeds the limit
v_cndmask_b32 v6, v6, v[vgprValuC+104], s[54:55]   // 
v_cmp_class_f32 s[54:55], v[vgprValuC+105], v10    // check NaN and +/-INF
v_med3_f32 v7, v[vgprValuC+105], v8, v9            // Clipping f32 value if exceeds the limit
v_cndmask_b32 v7, v7, v[vgprValuC+105], s[54:55]   // 
v_cvt_pk_bf8_f32  v104, v6, v7 op_sel:[0,0,0]      // convert two f32 accumulated values to fp8 and save it to lo_16[0:15]
v_cmp_class_f32 s[54:55], v[vgprValuC+106], v10    // check NaN and +/-INF
v_med3_f32 v6, v[vgprValuC+106], v8, v9            // Clipping f32 value if exceeds the limit
v_cndmask_b32 v6, v6, v[vgprValuC+106], s[54:55]   // 
v_cmp_class_f32 s[54:55], v[vgprValuC+107], v10    // check NaN and +/-INF
v_med3_f32 v7, v[vgprValuC+107], v8, v9            // Clipping f32 value if exceeds the limit
v_cndmask_b32 v7, v7, v[vgprValuC+107], s[54:55]   // 
v_cvt_pk_bf8_f32  v104, v6, v7 op_sel:[0,0,1]      // convert two f32 accumulated values to fp8 and save it to hi_16[16:31]
v_cmp_class_f32 s[54:55], v[vgprValuC+108], v10    // check NaN and +/-INF
v_med3_f32 v6, v[vgprValuC+108], v8, v9            // Clipping f32 value if exceeds the limit
v_cndmask_b32 v6, v6, v[vgprValuC+108], s[54:55]   // 
v_cmp_class_f32 s[54:55], v[vgprValuC+109], v10    // check NaN and +/-INF
v_med3_f32 v7, v[vgprValuC+109], v8, v9            // Clipping f32 value if exceeds the limit
v_cndmask_b32 v7, v7, v[vgprValuC+109], s[54:55]   // 
v_cvt_pk_bf8_f32  v105, v6, v7 op_sel:[0,0,0]      // convert two f32 accumulated values to fp8 and save it to lo_16[0:15]
v_cmp_class_f32 s[54:55], v[vgprValuC+110], v10    // check NaN and +/-INF
v_med3_f32 v6, v[vgprValuC+110], v8, v9            // Clipping f32 value if exceeds the limit
v_cndmask_b32 v6, v6, v[vgprValuC+110], s[54:55]   // 
v_cmp_class_f32 s[54:55], v[vgprValuC+111], v10    // check NaN and +/-INF
v_med3_f32 v7, v[vgprValuC+111], v8, v9            // Clipping f32 value if exceeds the limit
v_cndmask_b32 v7, v7, v[vgprValuC+111], s[54:55]   // 
v_cvt_pk_bf8_f32  v105, v6, v7 op_sel:[0,0,1]      // convert two f32 accumulated values to fp8 and save it to hi_16[16:31]
s_lshl_b32  s54, s[sgprStrideD1J], 0               // incToNextRow: Scale by BPE
s_add_u32  s[sgprSrdD+0], s[sgprSrdD+0], s54       // incToNextRow: gra SRD += inc(lower)
s_addc_u32  s[sgprSrdD+1], s[sgprSrdD+1], 0        // incToNextRow: gra SRD += inc(upper)
_buffer_store_b64 v[104:105], v11, s[sgprSrdD:sgprSrdD+3], 0, offen, offset:0,  sc0 sc1 // store D
v_cmp_class_f32 s[54:55], v[vgprValuC+112], v10    // check NaN and +/-INF
v_med3_f32 v6, v[vgprValuC+112], v8, v9            // Clipping f32 value if exceeds the limit
v_cndmask_b32 v6, v6, v[vgprValuC+112], s[54:55]   // 
v_cmp_class_f32 s[54:55], v[vgprValuC+113], v10    // check NaN and +/-INF
v_med3_f32 v7, v[vgprValuC+113], v8, v9            // Clipping f32 value if exceeds the limit
v_cndmask_b32 v7, v7, v[vgprValuC+113], s[54:55]   // 
v_cvt_pk_bf8_f32  v112, v6, v7 op_sel:[0,0,0]      // convert two f32 accumulated values to fp8 and save it to lo_16[0:15]
v_cmp_class_f32 s[54:55], v[vgprValuC+114], v10    // check NaN and +/-INF
v_med3_f32 v6, v[vgprValuC+114], v8, v9            // Clipping f32 value if exceeds the limit
v_cndmask_b32 v6, v6, v[vgprValuC+114], s[54:55]   // 
v_cmp_class_f32 s[54:55], v[vgprValuC+115], v10    // check NaN and +/-INF
v_med3_f32 v7, v[vgprValuC+115], v8, v9            // Clipping f32 value if exceeds the limit
v_cndmask_b32 v7, v7, v[vgprValuC+115], s[54:55]   // 
v_cvt_pk_bf8_f32  v112, v6, v7 op_sel:[0,0,1]      // convert two f32 accumulated values to fp8 and save it to hi_16[16:31]
v_cmp_class_f32 s[54:55], v[vgprValuC+116], v10    // check NaN and +/-INF
v_med3_f32 v6, v[vgprValuC+116], v8, v9            // Clipping f32 value if exceeds the limit
v_cndmask_b32 v6, v6, v[vgprValuC+116], s[54:55]   // 
v_cmp_class_f32 s[54:55], v[vgprValuC+117], v10    // check NaN and +/-INF
v_med3_f32 v7, v[vgprValuC+117], v8, v9            // Clipping f32 value if exceeds the limit
v_cndmask_b32 v7, v7, v[vgprValuC+117], s[54:55]   // 
v_cvt_pk_bf8_f32  v113, v6, v7 op_sel:[0,0,0]      // convert two f32 accumulated values to fp8 and save it to lo_16[0:15]
v_cmp_class_f32 s[54:55], v[vgprValuC+118], v10    // check NaN and +/-INF
v_med3_f32 v6, v[vgprValuC+118], v8, v9            // Clipping f32 value if exceeds the limit
v_cndmask_b32 v6, v6, v[vgprValuC+118], s[54:55]   // 
v_cmp_class_f32 s[54:55], v[vgprValuC+119], v10    // check NaN and +/-INF
v_med3_f32 v7, v[vgprValuC+119], v8, v9            // Clipping f32 value if exceeds the limit
v_cndmask_b32 v7, v7, v[vgprValuC+119], s[54:55]   // 
v_cvt_pk_bf8_f32  v113, v6, v7 op_sel:[0,0,1]      // convert two f32 accumulated values to fp8 and save it to hi_16[16:31]
s_mul_i32 s54, s[sgprStrideD1J], 29                // scale StrideD *= numRows(29) * bpe
s_add_u32  s[sgprSrdD+0], s[sgprSrdD+0], s54       // incToNextRow: gra SRD += inc(lower)
s_addc_u32  s[sgprSrdD+1], s[sgprSrdD+1], 0        // incToNextRow: gra SRD += inc(upper)
_buffer_store_b64 v[112:113], v11, s[sgprSrdD:sgprSrdD+3], 0, offen, offset:0,  sc0 sc1 // store D
v_cmp_class_f32 s[54:55], v[vgprValuC+120], v10    // check NaN and +/-INF
v_med3_f32 v6, v[vgprValuC+120], v8, v9            // Clipping f32 value if exceeds the limit
v_cndmask_b32 v6, v6, v[vgprValuC+120], s[54:55]   // 
v_cmp_class_f32 s[54:55], v[vgprValuC+121], v10    // check NaN and +/-INF
v_med3_f32 v7, v[vgprValuC+121], v8, v9            // Clipping f32 value if exceeds the limit
v_cndmask_b32 v7, v7, v[vgprValuC+121], s[54:55]   // 
v_cvt_pk_bf8_f32  v120, v6, v7 op_sel:[0,0,0]      // convert two f32 accumulated values to fp8 and save it to lo_16[0:15]
v_cmp_class_f32 s[54:55], v[vgprValuC+122], v10    // check NaN and +/-INF
v_med3_f32 v6, v[vgprValuC+122], v8, v9            // Clipping f32 value if exceeds the limit
v_cndmask_b32 v6, v6, v[vgprValuC+122], s[54:55]   // 
v_cmp_class_f32 s[54:55], v[vgprValuC+123], v10    // check NaN and +/-INF
v_med3_f32 v7, v[vgprValuC+123], v8, v9            // Clipping f32 value if exceeds the limit
v_cndmask_b32 v7, v7, v[vgprValuC+123], s[54:55]   // 
v_cvt_pk_bf8_f32  v120, v6, v7 op_sel:[0,0,1]      // convert two f32 accumulated values to fp8 and save it to hi_16[16:31]
v_cmp_class_f32 s[54:55], v[vgprValuC+124], v10    // check NaN and +/-INF
v_med3_f32 v6, v[vgprValuC+124], v8, v9            // Clipping f32 value if exceeds the limit
v_cndmask_b32 v6, v6, v[vgprValuC+124], s[54:55]   // 
v_cmp_class_f32 s[54:55], v[vgprValuC+125], v10    // check NaN and +/-INF
v_med3_f32 v7, v[vgprValuC+125], v8, v9            // Clipping f32 value if exceeds the limit
v_cndmask_b32 v7, v7, v[vgprValuC+125], s[54:55]   // 
v_cvt_pk_bf8_f32  v121, v6, v7 op_sel:[0,0,0]      // convert two f32 accumulated values to fp8 and save it to lo_16[0:15]
v_cmp_class_f32 s[54:55], v[vgprValuC+126], v10    // check NaN and +/-INF
v_med3_f32 v6, v[vgprValuC+126], v8, v9            // Clipping f32 value if exceeds the limit
v_cndmask_b32 v6, v6, v[vgprValuC+126], s[54:55]   // 
v_cmp_class_f32 s[54:55], v[vgprValuC+127], v10    // check NaN and +/-INF
v_med3_f32 v7, v[vgprValuC+127], v8, v9            // Clipping f32 value if exceeds the limit
v_cndmask_b32 v7, v7, v[vgprValuC+127], s[54:55]   // 
v_cvt_pk_bf8_f32  v121, v6, v7 op_sel:[0,0,1]      // convert two f32 accumulated values to fp8 and save it to hi_16[16:31]
s_lshl_b32  s54, s[sgprStrideD1J], 0               // incToNextRow: Scale by BPE
s_add_u32  s[sgprSrdD+0], s[sgprSrdD+0], s54       // incToNextRow: gra SRD += inc(lower)
s_addc_u32  s[sgprSrdD+1], s[sgprSrdD+1], 0        // incToNextRow: gra SRD += inc(upper)
_buffer_store_b64 v[120:121], v11, s[sgprSrdD:sgprSrdD+3], 0, offen, offset:0,  sc0 sc1 // store D
v_cmp_class_f32 s[54:55], v[vgprValuC+128], v10    // check NaN and +/-INF
v_med3_f32 v6, v[vgprValuC+128], v8, v9            // Clipping f32 value if exceeds the limit
v_cndmask_b32 v6, v6, v[vgprValuC+128], s[54:55]   // 
v_cmp_class_f32 s[54:55], v[vgprValuC+129], v10    // check NaN and +/-INF
v_med3_f32 v7, v[vgprValuC+129], v8, v9            // Clipping f32 value if exceeds the limit
v_cndmask_b32 v7, v7, v[vgprValuC+129], s[54:55]   // 
v_cvt_pk_bf8_f32  v128, v6, v7 op_sel:[0,0,0]      // convert two f32 accumulated values to fp8 and save it to lo_16[0:15]
v_cmp_class_f32 s[54:55], v[vgprValuC+130], v10    // check NaN and +/-INF
v_med3_f32 v6, v[vgprValuC+130], v8, v9            // Clipping f32 value if exceeds the limit
v_cndmask_b32 v6, v6, v[vgprValuC+130], s[54:55]   // 
v_cmp_class_f32 s[54:55], v[vgprValuC+131], v10    // check NaN and +/-INF
v_med3_f32 v7, v[vgprValuC+131], v8, v9            // Clipping f32 value if exceeds the limit
v_cndmask_b32 v7, v7, v[vgprValuC+131], s[54:55]   // 
v_cvt_pk_bf8_f32  v128, v6, v7 op_sel:[0,0,1]      // convert two f32 accumulated values to fp8 and save it to hi_16[16:31]
v_cmp_class_f32 s[54:55], v[vgprValuC+132], v10    // check NaN and +/-INF
v_med3_f32 v6, v[vgprValuC+132], v8, v9            // Clipping f32 value if exceeds the limit
v_cndmask_b32 v6, v6, v[vgprValuC+132], s[54:55]   // 
v_cmp_class_f32 s[54:55], v[vgprValuC+133], v10    // check NaN and +/-INF
v_med3_f32 v7, v[vgprValuC+133], v8, v9            // Clipping f32 value if exceeds the limit
v_cndmask_b32 v7, v7, v[vgprValuC+133], s[54:55]   // 
v_cvt_pk_bf8_f32  v129, v6, v7 op_sel:[0,0,0]      // convert two f32 accumulated values to fp8 and save it to lo_16[0:15]
v_cmp_class_f32 s[54:55], v[vgprValuC+134], v10    // check NaN and +/-INF
v_med3_f32 v6, v[vgprValuC+134], v8, v9            // Clipping f32 value if exceeds the limit
v_cndmask_b32 v6, v6, v[vgprValuC+134], s[54:55]   // 
v_cmp_class_f32 s[54:55], v[vgprValuC+135], v10    // check NaN and +/-INF
v_med3_f32 v7, v[vgprValuC+135], v8, v9            // Clipping f32 value if exceeds the limit
v_cndmask_b32 v7, v7, v[vgprValuC+135], s[54:55]   // 
v_cvt_pk_bf8_f32  v129, v6, v7 op_sel:[0,0,1]      // convert two f32 accumulated values to fp8 and save it to hi_16[16:31]
s_lshl_b32  s54, s[sgprStrideD1J], 0               // incToNextRow: Scale by BPE
	;; [unrolled: 32-line block ×3, first 2 shown]
s_add_u32  s[sgprSrdD+0], s[sgprSrdD+0], s54       // incToNextRow: gra SRD += inc(lower)
s_addc_u32  s[sgprSrdD+1], s[sgprSrdD+1], 0        // incToNextRow: gra SRD += inc(upper)
_buffer_store_b64 v[136:137], v11, s[sgprSrdD:sgprSrdD+3], 0, offen, offset:0,  sc0 sc1 // store D
v_cmp_class_f32 s[54:55], v[vgprValuC+144], v10    // check NaN and +/-INF
v_med3_f32 v6, v[vgprValuC+144], v8, v9            // Clipping f32 value if exceeds the limit
v_cndmask_b32 v6, v6, v[vgprValuC+144], s[54:55]   // 
v_cmp_class_f32 s[54:55], v[vgprValuC+145], v10    // check NaN and +/-INF
v_med3_f32 v7, v[vgprValuC+145], v8, v9            // Clipping f32 value if exceeds the limit
v_cndmask_b32 v7, v7, v[vgprValuC+145], s[54:55]   // 
v_cvt_pk_bf8_f32  v144, v6, v7 op_sel:[0,0,0]      // convert two f32 accumulated values to fp8 and save it to lo_16[0:15]
v_cmp_class_f32 s[54:55], v[vgprValuC+146], v10    // check NaN and +/-INF
v_med3_f32 v6, v[vgprValuC+146], v8, v9            // Clipping f32 value if exceeds the limit
v_cndmask_b32 v6, v6, v[vgprValuC+146], s[54:55]   // 
v_cmp_class_f32 s[54:55], v[vgprValuC+147], v10    // check NaN and +/-INF
v_med3_f32 v7, v[vgprValuC+147], v8, v9            // Clipping f32 value if exceeds the limit
v_cndmask_b32 v7, v7, v[vgprValuC+147], s[54:55]   // 
v_cvt_pk_bf8_f32  v144, v6, v7 op_sel:[0,0,1]      // convert two f32 accumulated values to fp8 and save it to hi_16[16:31]
v_cmp_class_f32 s[54:55], v[vgprValuC+148], v10    // check NaN and +/-INF
v_med3_f32 v6, v[vgprValuC+148], v8, v9            // Clipping f32 value if exceeds the limit
v_cndmask_b32 v6, v6, v[vgprValuC+148], s[54:55]   // 
v_cmp_class_f32 s[54:55], v[vgprValuC+149], v10    // check NaN and +/-INF
v_med3_f32 v7, v[vgprValuC+149], v8, v9            // Clipping f32 value if exceeds the limit
v_cndmask_b32 v7, v7, v[vgprValuC+149], s[54:55]   // 
v_cvt_pk_bf8_f32  v145, v6, v7 op_sel:[0,0,0]      // convert two f32 accumulated values to fp8 and save it to lo_16[0:15]
v_cmp_class_f32 s[54:55], v[vgprValuC+150], v10    // check NaN and +/-INF
v_med3_f32 v6, v[vgprValuC+150], v8, v9            // Clipping f32 value if exceeds the limit
v_cndmask_b32 v6, v6, v[vgprValuC+150], s[54:55]   // 
v_cmp_class_f32 s[54:55], v[vgprValuC+151], v10    // check NaN and +/-INF
v_med3_f32 v7, v[vgprValuC+151], v8, v9            // Clipping f32 value if exceeds the limit
v_cndmask_b32 v7, v7, v[vgprValuC+151], s[54:55]   // 
v_cvt_pk_bf8_f32  v145, v6, v7 op_sel:[0,0,1]      // convert two f32 accumulated values to fp8 and save it to hi_16[16:31]
s_mul_i32 s54, s[sgprStrideD1J], 29                // scale StrideD *= numRows(29) * bpe
s_add_u32  s[sgprSrdD+0], s[sgprSrdD+0], s54       // incToNextRow: gra SRD += inc(lower)
s_addc_u32  s[sgprSrdD+1], s[sgprSrdD+1], 0        // incToNextRow: gra SRD += inc(upper)
_buffer_store_b64 v[144:145], v11, s[sgprSrdD:sgprSrdD+3], 0, offen, offset:0,  sc0 sc1 // store D
v_cmp_class_f32 s[54:55], v[vgprValuC+152], v10    // check NaN and +/-INF
v_med3_f32 v6, v[vgprValuC+152], v8, v9            // Clipping f32 value if exceeds the limit
v_cndmask_b32 v6, v6, v[vgprValuC+152], s[54:55]   // 
v_cmp_class_f32 s[54:55], v[vgprValuC+153], v10    // check NaN and +/-INF
v_med3_f32 v7, v[vgprValuC+153], v8, v9            // Clipping f32 value if exceeds the limit
v_cndmask_b32 v7, v7, v[vgprValuC+153], s[54:55]   // 
v_cvt_pk_bf8_f32  v152, v6, v7 op_sel:[0,0,0]      // convert two f32 accumulated values to fp8 and save it to lo_16[0:15]
v_cmp_class_f32 s[54:55], v[vgprValuC+154], v10    // check NaN and +/-INF
v_med3_f32 v6, v[vgprValuC+154], v8, v9            // Clipping f32 value if exceeds the limit
v_cndmask_b32 v6, v6, v[vgprValuC+154], s[54:55]   // 
v_cmp_class_f32 s[54:55], v[vgprValuC+155], v10    // check NaN and +/-INF
v_med3_f32 v7, v[vgprValuC+155], v8, v9            // Clipping f32 value if exceeds the limit
v_cndmask_b32 v7, v7, v[vgprValuC+155], s[54:55]   // 
v_cvt_pk_bf8_f32  v152, v6, v7 op_sel:[0,0,1]      // convert two f32 accumulated values to fp8 and save it to hi_16[16:31]
v_cmp_class_f32 s[54:55], v[vgprValuC+156], v10    // check NaN and +/-INF
v_med3_f32 v6, v[vgprValuC+156], v8, v9            // Clipping f32 value if exceeds the limit
v_cndmask_b32 v6, v6, v[vgprValuC+156], s[54:55]   // 
v_cmp_class_f32 s[54:55], v[vgprValuC+157], v10    // check NaN and +/-INF
v_med3_f32 v7, v[vgprValuC+157], v8, v9            // Clipping f32 value if exceeds the limit
v_cndmask_b32 v7, v7, v[vgprValuC+157], s[54:55]   // 
v_cvt_pk_bf8_f32  v153, v6, v7 op_sel:[0,0,0]      // convert two f32 accumulated values to fp8 and save it to lo_16[0:15]
v_cmp_class_f32 s[54:55], v[vgprValuC+158], v10    // check NaN and +/-INF
v_med3_f32 v6, v[vgprValuC+158], v8, v9            // Clipping f32 value if exceeds the limit
v_cndmask_b32 v6, v6, v[vgprValuC+158], s[54:55]   // 
v_cmp_class_f32 s[54:55], v[vgprValuC+159], v10    // check NaN and +/-INF
v_med3_f32 v7, v[vgprValuC+159], v8, v9            // Clipping f32 value if exceeds the limit
v_cndmask_b32 v7, v7, v[vgprValuC+159], s[54:55]   // 
v_cvt_pk_bf8_f32  v153, v6, v7 op_sel:[0,0,1]      // convert two f32 accumulated values to fp8 and save it to hi_16[16:31]
s_lshl_b32  s54, s[sgprStrideD1J], 0               // incToNextRow: Scale by BPE
s_add_u32  s[sgprSrdD+0], s[sgprSrdD+0], s54       // incToNextRow: gra SRD += inc(lower)
s_addc_u32  s[sgprSrdD+1], s[sgprSrdD+1], 0        // incToNextRow: gra SRD += inc(upper)
_buffer_store_b64 v[152:153], v11, s[sgprSrdD:sgprSrdD+3], 0, offen, offset:0,  sc0 sc1 // store D
v_cmp_class_f32 s[54:55], v[vgprValuC+160], v10    // check NaN and +/-INF
v_med3_f32 v6, v[vgprValuC+160], v8, v9            // Clipping f32 value if exceeds the limit
v_cndmask_b32 v6, v6, v[vgprValuC+160], s[54:55]   // 
v_cmp_class_f32 s[54:55], v[vgprValuC+161], v10    // check NaN and +/-INF
v_med3_f32 v7, v[vgprValuC+161], v8, v9            // Clipping f32 value if exceeds the limit
v_cndmask_b32 v7, v7, v[vgprValuC+161], s[54:55]   // 
v_cvt_pk_bf8_f32  v160, v6, v7 op_sel:[0,0,0]      // convert two f32 accumulated values to fp8 and save it to lo_16[0:15]
v_cmp_class_f32 s[54:55], v[vgprValuC+162], v10    // check NaN and +/-INF
v_med3_f32 v6, v[vgprValuC+162], v8, v9            // Clipping f32 value if exceeds the limit
v_cndmask_b32 v6, v6, v[vgprValuC+162], s[54:55]   // 
v_cmp_class_f32 s[54:55], v[vgprValuC+163], v10    // check NaN and +/-INF
v_med3_f32 v7, v[vgprValuC+163], v8, v9            // Clipping f32 value if exceeds the limit
v_cndmask_b32 v7, v7, v[vgprValuC+163], s[54:55]   // 
v_cvt_pk_bf8_f32  v160, v6, v7 op_sel:[0,0,1]      // convert two f32 accumulated values to fp8 and save it to hi_16[16:31]
v_cmp_class_f32 s[54:55], v[vgprValuC+164], v10    // check NaN and +/-INF
v_med3_f32 v6, v[vgprValuC+164], v8, v9            // Clipping f32 value if exceeds the limit
v_cndmask_b32 v6, v6, v[vgprValuC+164], s[54:55]   // 
v_cmp_class_f32 s[54:55], v[vgprValuC+165], v10    // check NaN and +/-INF
v_med3_f32 v7, v[vgprValuC+165], v8, v9            // Clipping f32 value if exceeds the limit
v_cndmask_b32 v7, v7, v[vgprValuC+165], s[54:55]   // 
v_cvt_pk_bf8_f32  v161, v6, v7 op_sel:[0,0,0]      // convert two f32 accumulated values to fp8 and save it to lo_16[0:15]
v_cmp_class_f32 s[54:55], v[vgprValuC+166], v10    // check NaN and +/-INF
v_med3_f32 v6, v[vgprValuC+166], v8, v9            // Clipping f32 value if exceeds the limit
v_cndmask_b32 v6, v6, v[vgprValuC+166], s[54:55]   // 
v_cmp_class_f32 s[54:55], v[vgprValuC+167], v10    // check NaN and +/-INF
v_med3_f32 v7, v[vgprValuC+167], v8, v9            // Clipping f32 value if exceeds the limit
v_cndmask_b32 v7, v7, v[vgprValuC+167], s[54:55]   // 
v_cvt_pk_bf8_f32  v161, v6, v7 op_sel:[0,0,1]      // convert two f32 accumulated values to fp8 and save it to hi_16[16:31]
s_lshl_b32  s54, s[sgprStrideD1J], 0               // incToNextRow: Scale by BPE
	;; [unrolled: 32-line block ×3, first 2 shown]
s_add_u32  s[sgprSrdD+0], s[sgprSrdD+0], s54       // incToNextRow: gra SRD += inc(lower)
s_addc_u32  s[sgprSrdD+1], s[sgprSrdD+1], 0        // incToNextRow: gra SRD += inc(upper)
_buffer_store_b64 v[168:169], v11, s[sgprSrdD:sgprSrdD+3], 0, offen, offset:0,  sc0 sc1 // store D
v_cmp_class_f32 s[54:55], v[vgprValuC+176], v10    // check NaN and +/-INF
v_med3_f32 v6, v[vgprValuC+176], v8, v9            // Clipping f32 value if exceeds the limit
v_cndmask_b32 v6, v6, v[vgprValuC+176], s[54:55]   // 
v_cmp_class_f32 s[54:55], v[vgprValuC+177], v10    // check NaN and +/-INF
v_med3_f32 v7, v[vgprValuC+177], v8, v9            // Clipping f32 value if exceeds the limit
v_cndmask_b32 v7, v7, v[vgprValuC+177], s[54:55]   // 
v_cvt_pk_bf8_f32  v176, v6, v7 op_sel:[0,0,0]      // convert two f32 accumulated values to fp8 and save it to lo_16[0:15]
v_cmp_class_f32 s[54:55], v[vgprValuC+178], v10    // check NaN and +/-INF
v_med3_f32 v6, v[vgprValuC+178], v8, v9            // Clipping f32 value if exceeds the limit
v_cndmask_b32 v6, v6, v[vgprValuC+178], s[54:55]   // 
v_cmp_class_f32 s[54:55], v[vgprValuC+179], v10    // check NaN and +/-INF
v_med3_f32 v7, v[vgprValuC+179], v8, v9            // Clipping f32 value if exceeds the limit
v_cndmask_b32 v7, v7, v[vgprValuC+179], s[54:55]   // 
v_cvt_pk_bf8_f32  v176, v6, v7 op_sel:[0,0,1]      // convert two f32 accumulated values to fp8 and save it to hi_16[16:31]
v_cmp_class_f32 s[54:55], v[vgprValuC+180], v10    // check NaN and +/-INF
v_med3_f32 v6, v[vgprValuC+180], v8, v9            // Clipping f32 value if exceeds the limit
v_cndmask_b32 v6, v6, v[vgprValuC+180], s[54:55]   // 
v_cmp_class_f32 s[54:55], v[vgprValuC+181], v10    // check NaN and +/-INF
v_med3_f32 v7, v[vgprValuC+181], v8, v9            // Clipping f32 value if exceeds the limit
v_cndmask_b32 v7, v7, v[vgprValuC+181], s[54:55]   // 
v_cvt_pk_bf8_f32  v177, v6, v7 op_sel:[0,0,0]      // convert two f32 accumulated values to fp8 and save it to lo_16[0:15]
v_cmp_class_f32 s[54:55], v[vgprValuC+182], v10    // check NaN and +/-INF
v_med3_f32 v6, v[vgprValuC+182], v8, v9            // Clipping f32 value if exceeds the limit
v_cndmask_b32 v6, v6, v[vgprValuC+182], s[54:55]   // 
v_cmp_class_f32 s[54:55], v[vgprValuC+183], v10    // check NaN and +/-INF
v_med3_f32 v7, v[vgprValuC+183], v8, v9            // Clipping f32 value if exceeds the limit
v_cndmask_b32 v7, v7, v[vgprValuC+183], s[54:55]   // 
v_cvt_pk_bf8_f32  v177, v6, v7 op_sel:[0,0,1]      // convert two f32 accumulated values to fp8 and save it to hi_16[16:31]
s_mul_i32 s54, s[sgprStrideD1J], 29                // scale StrideD *= numRows(29) * bpe
s_add_u32  s[sgprSrdD+0], s[sgprSrdD+0], s54       // incToNextRow: gra SRD += inc(lower)
s_addc_u32  s[sgprSrdD+1], s[sgprSrdD+1], 0        // incToNextRow: gra SRD += inc(upper)
_buffer_store_b64 v[176:177], v11, s[sgprSrdD:sgprSrdD+3], 0, offen, offset:0,  sc0 sc1 // store D
v_cmp_class_f32 s[54:55], v[vgprValuC+184], v10    // check NaN and +/-INF
v_med3_f32 v6, v[vgprValuC+184], v8, v9            // Clipping f32 value if exceeds the limit
v_cndmask_b32 v6, v6, v[vgprValuC+184], s[54:55]   // 
v_cmp_class_f32 s[54:55], v[vgprValuC+185], v10    // check NaN and +/-INF
v_med3_f32 v7, v[vgprValuC+185], v8, v9            // Clipping f32 value if exceeds the limit
v_cndmask_b32 v7, v7, v[vgprValuC+185], s[54:55]   // 
v_cvt_pk_bf8_f32  v184, v6, v7 op_sel:[0,0,0]      // convert two f32 accumulated values to fp8 and save it to lo_16[0:15]
v_cmp_class_f32 s[54:55], v[vgprValuC+186], v10    // check NaN and +/-INF
v_med3_f32 v6, v[vgprValuC+186], v8, v9            // Clipping f32 value if exceeds the limit
v_cndmask_b32 v6, v6, v[vgprValuC+186], s[54:55]   // 
v_cmp_class_f32 s[54:55], v[vgprValuC+187], v10    // check NaN and +/-INF
v_med3_f32 v7, v[vgprValuC+187], v8, v9            // Clipping f32 value if exceeds the limit
v_cndmask_b32 v7, v7, v[vgprValuC+187], s[54:55]   // 
v_cvt_pk_bf8_f32  v184, v6, v7 op_sel:[0,0,1]      // convert two f32 accumulated values to fp8 and save it to hi_16[16:31]
v_cmp_class_f32 s[54:55], v[vgprValuC+188], v10    // check NaN and +/-INF
v_med3_f32 v6, v[vgprValuC+188], v8, v9            // Clipping f32 value if exceeds the limit
v_cndmask_b32 v6, v6, v[vgprValuC+188], s[54:55]   // 
v_cmp_class_f32 s[54:55], v[vgprValuC+189], v10    // check NaN and +/-INF
v_med3_f32 v7, v[vgprValuC+189], v8, v9            // Clipping f32 value if exceeds the limit
v_cndmask_b32 v7, v7, v[vgprValuC+189], s[54:55]   // 
v_cvt_pk_bf8_f32  v185, v6, v7 op_sel:[0,0,0]      // convert two f32 accumulated values to fp8 and save it to lo_16[0:15]
v_cmp_class_f32 s[54:55], v[vgprValuC+190], v10    // check NaN and +/-INF
v_med3_f32 v6, v[vgprValuC+190], v8, v9            // Clipping f32 value if exceeds the limit
v_cndmask_b32 v6, v6, v[vgprValuC+190], s[54:55]   // 
v_cmp_class_f32 s[54:55], v[vgprValuC+191], v10    // check NaN and +/-INF
v_med3_f32 v7, v[vgprValuC+191], v8, v9            // Clipping f32 value if exceeds the limit
v_cndmask_b32 v7, v7, v[vgprValuC+191], s[54:55]   // 
v_cvt_pk_bf8_f32  v185, v6, v7 op_sel:[0,0,1]      // convert two f32 accumulated values to fp8 and save it to hi_16[16:31]
s_lshl_b32  s54, s[sgprStrideD1J], 0               // incToNextRow: Scale by BPE
s_add_u32  s[sgprSrdD+0], s[sgprSrdD+0], s54       // incToNextRow: gra SRD += inc(lower)
s_addc_u32  s[sgprSrdD+1], s[sgprSrdD+1], 0        // incToNextRow: gra SRD += inc(upper)
_buffer_store_b64 v[184:185], v11, s[sgprSrdD:sgprSrdD+3], 0, offen, offset:0,  sc0 sc1 // store D
v_cmp_class_f32 s[54:55], v[vgprValuC+192], v10    // check NaN and +/-INF
v_med3_f32 v6, v[vgprValuC+192], v8, v9            // Clipping f32 value if exceeds the limit
v_cndmask_b32 v6, v6, v[vgprValuC+192], s[54:55]   // 
v_cmp_class_f32 s[54:55], v[vgprValuC+193], v10    // check NaN and +/-INF
v_med3_f32 v7, v[vgprValuC+193], v8, v9            // Clipping f32 value if exceeds the limit
v_cndmask_b32 v7, v7, v[vgprValuC+193], s[54:55]   // 
v_cvt_pk_bf8_f32  v192, v6, v7 op_sel:[0,0,0]      // convert two f32 accumulated values to fp8 and save it to lo_16[0:15]
v_cmp_class_f32 s[54:55], v[vgprValuC+194], v10    // check NaN and +/-INF
v_med3_f32 v6, v[vgprValuC+194], v8, v9            // Clipping f32 value if exceeds the limit
v_cndmask_b32 v6, v6, v[vgprValuC+194], s[54:55]   // 
v_cmp_class_f32 s[54:55], v[vgprValuC+195], v10    // check NaN and +/-INF
v_med3_f32 v7, v[vgprValuC+195], v8, v9            // Clipping f32 value if exceeds the limit
v_cndmask_b32 v7, v7, v[vgprValuC+195], s[54:55]   // 
v_cvt_pk_bf8_f32  v192, v6, v7 op_sel:[0,0,1]      // convert two f32 accumulated values to fp8 and save it to hi_16[16:31]
v_cmp_class_f32 s[54:55], v[vgprValuC+196], v10    // check NaN and +/-INF
v_med3_f32 v6, v[vgprValuC+196], v8, v9            // Clipping f32 value if exceeds the limit
v_cndmask_b32 v6, v6, v[vgprValuC+196], s[54:55]   // 
v_cmp_class_f32 s[54:55], v[vgprValuC+197], v10    // check NaN and +/-INF
v_med3_f32 v7, v[vgprValuC+197], v8, v9            // Clipping f32 value if exceeds the limit
v_cndmask_b32 v7, v7, v[vgprValuC+197], s[54:55]   // 
v_cvt_pk_bf8_f32  v193, v6, v7 op_sel:[0,0,0]      // convert two f32 accumulated values to fp8 and save it to lo_16[0:15]
v_cmp_class_f32 s[54:55], v[vgprValuC+198], v10    // check NaN and +/-INF
v_med3_f32 v6, v[vgprValuC+198], v8, v9            // Clipping f32 value if exceeds the limit
v_cndmask_b32 v6, v6, v[vgprValuC+198], s[54:55]   // 
v_cmp_class_f32 s[54:55], v[vgprValuC+199], v10    // check NaN and +/-INF
v_med3_f32 v7, v[vgprValuC+199], v8, v9            // Clipping f32 value if exceeds the limit
v_cndmask_b32 v7, v7, v[vgprValuC+199], s[54:55]   // 
v_cvt_pk_bf8_f32  v193, v6, v7 op_sel:[0,0,1]      // convert two f32 accumulated values to fp8 and save it to hi_16[16:31]
s_lshl_b32  s54, s[sgprStrideD1J], 0               // incToNextRow: Scale by BPE
	;; [unrolled: 32-line block ×3, first 2 shown]
s_add_u32  s[sgprSrdD+0], s[sgprSrdD+0], s54       // incToNextRow: gra SRD += inc(lower)
s_addc_u32  s[sgprSrdD+1], s[sgprSrdD+1], 0        // incToNextRow: gra SRD += inc(upper)
_buffer_store_b64 v[200:201], v11, s[sgprSrdD:sgprSrdD+3], 0, offen, offset:0,  sc0 sc1 // store D
v_cmp_class_f32 s[54:55], v[vgprValuC+208], v10    // check NaN and +/-INF
v_med3_f32 v6, v[vgprValuC+208], v8, v9            // Clipping f32 value if exceeds the limit
v_cndmask_b32 v6, v6, v[vgprValuC+208], s[54:55]   // 
v_cmp_class_f32 s[54:55], v[vgprValuC+209], v10    // check NaN and +/-INF
v_med3_f32 v7, v[vgprValuC+209], v8, v9            // Clipping f32 value if exceeds the limit
v_cndmask_b32 v7, v7, v[vgprValuC+209], s[54:55]   // 
v_cvt_pk_bf8_f32  v208, v6, v7 op_sel:[0,0,0]      // convert two f32 accumulated values to fp8 and save it to lo_16[0:15]
v_cmp_class_f32 s[54:55], v[vgprValuC+210], v10    // check NaN and +/-INF
v_med3_f32 v6, v[vgprValuC+210], v8, v9            // Clipping f32 value if exceeds the limit
v_cndmask_b32 v6, v6, v[vgprValuC+210], s[54:55]   // 
v_cmp_class_f32 s[54:55], v[vgprValuC+211], v10    // check NaN and +/-INF
v_med3_f32 v7, v[vgprValuC+211], v8, v9            // Clipping f32 value if exceeds the limit
v_cndmask_b32 v7, v7, v[vgprValuC+211], s[54:55]   // 
v_cvt_pk_bf8_f32  v208, v6, v7 op_sel:[0,0,1]      // convert two f32 accumulated values to fp8 and save it to hi_16[16:31]
v_cmp_class_f32 s[54:55], v[vgprValuC+212], v10    // check NaN and +/-INF
v_med3_f32 v6, v[vgprValuC+212], v8, v9            // Clipping f32 value if exceeds the limit
v_cndmask_b32 v6, v6, v[vgprValuC+212], s[54:55]   // 
v_cmp_class_f32 s[54:55], v[vgprValuC+213], v10    // check NaN and +/-INF
v_med3_f32 v7, v[vgprValuC+213], v8, v9            // Clipping f32 value if exceeds the limit
v_cndmask_b32 v7, v7, v[vgprValuC+213], s[54:55]   // 
v_cvt_pk_bf8_f32  v209, v6, v7 op_sel:[0,0,0]      // convert two f32 accumulated values to fp8 and save it to lo_16[0:15]
v_cmp_class_f32 s[54:55], v[vgprValuC+214], v10    // check NaN and +/-INF
v_med3_f32 v6, v[vgprValuC+214], v8, v9            // Clipping f32 value if exceeds the limit
v_cndmask_b32 v6, v6, v[vgprValuC+214], s[54:55]   // 
v_cmp_class_f32 s[54:55], v[vgprValuC+215], v10    // check NaN and +/-INF
v_med3_f32 v7, v[vgprValuC+215], v8, v9            // Clipping f32 value if exceeds the limit
v_cndmask_b32 v7, v7, v[vgprValuC+215], s[54:55]   // 
v_cvt_pk_bf8_f32  v209, v6, v7 op_sel:[0,0,1]      // convert two f32 accumulated values to fp8 and save it to hi_16[16:31]
s_mul_i32 s54, s[sgprStrideD1J], 29                // scale StrideD *= numRows(29) * bpe
s_add_u32  s[sgprSrdD+0], s[sgprSrdD+0], s54       // incToNextRow: gra SRD += inc(lower)
s_addc_u32  s[sgprSrdD+1], s[sgprSrdD+1], 0        // incToNextRow: gra SRD += inc(upper)
_buffer_store_b64 v[208:209], v11, s[sgprSrdD:sgprSrdD+3], 0, offen, offset:0,  sc0 sc1 // store D
v_cmp_class_f32 s[54:55], v[vgprValuC+216], v10    // check NaN and +/-INF
v_med3_f32 v6, v[vgprValuC+216], v8, v9            // Clipping f32 value if exceeds the limit
v_cndmask_b32 v6, v6, v[vgprValuC+216], s[54:55]   // 
v_cmp_class_f32 s[54:55], v[vgprValuC+217], v10    // check NaN and +/-INF
v_med3_f32 v7, v[vgprValuC+217], v8, v9            // Clipping f32 value if exceeds the limit
v_cndmask_b32 v7, v7, v[vgprValuC+217], s[54:55]   // 
v_cvt_pk_bf8_f32  v216, v6, v7 op_sel:[0,0,0]      // convert two f32 accumulated values to fp8 and save it to lo_16[0:15]
v_cmp_class_f32 s[54:55], v[vgprValuC+218], v10    // check NaN and +/-INF
v_med3_f32 v6, v[vgprValuC+218], v8, v9            // Clipping f32 value if exceeds the limit
v_cndmask_b32 v6, v6, v[vgprValuC+218], s[54:55]   // 
v_cmp_class_f32 s[54:55], v[vgprValuC+219], v10    // check NaN and +/-INF
v_med3_f32 v7, v[vgprValuC+219], v8, v9            // Clipping f32 value if exceeds the limit
v_cndmask_b32 v7, v7, v[vgprValuC+219], s[54:55]   // 
v_cvt_pk_bf8_f32  v216, v6, v7 op_sel:[0,0,1]      // convert two f32 accumulated values to fp8 and save it to hi_16[16:31]
v_cmp_class_f32 s[54:55], v[vgprValuC+220], v10    // check NaN and +/-INF
v_med3_f32 v6, v[vgprValuC+220], v8, v9            // Clipping f32 value if exceeds the limit
v_cndmask_b32 v6, v6, v[vgprValuC+220], s[54:55]   // 
v_cmp_class_f32 s[54:55], v[vgprValuC+221], v10    // check NaN and +/-INF
v_med3_f32 v7, v[vgprValuC+221], v8, v9            // Clipping f32 value if exceeds the limit
v_cndmask_b32 v7, v7, v[vgprValuC+221], s[54:55]   // 
v_cvt_pk_bf8_f32  v217, v6, v7 op_sel:[0,0,0]      // convert two f32 accumulated values to fp8 and save it to lo_16[0:15]
v_cmp_class_f32 s[54:55], v[vgprValuC+222], v10    // check NaN and +/-INF
v_med3_f32 v6, v[vgprValuC+222], v8, v9            // Clipping f32 value if exceeds the limit
v_cndmask_b32 v6, v6, v[vgprValuC+222], s[54:55]   // 
v_cmp_class_f32 s[54:55], v[vgprValuC+223], v10    // check NaN and +/-INF
v_med3_f32 v7, v[vgprValuC+223], v8, v9            // Clipping f32 value if exceeds the limit
v_cndmask_b32 v7, v7, v[vgprValuC+223], s[54:55]   // 
v_cvt_pk_bf8_f32  v217, v6, v7 op_sel:[0,0,1]      // convert two f32 accumulated values to fp8 and save it to hi_16[16:31]
s_lshl_b32  s54, s[sgprStrideD1J], 0               // incToNextRow: Scale by BPE
s_add_u32  s[sgprSrdD+0], s[sgprSrdD+0], s54       // incToNextRow: gra SRD += inc(lower)
s_addc_u32  s[sgprSrdD+1], s[sgprSrdD+1], 0        // incToNextRow: gra SRD += inc(upper)
_buffer_store_b64 v[216:217], v11, s[sgprSrdD:sgprSrdD+3], 0, offen, offset:0,  sc0 sc1 // store D
v_cmp_class_f32 s[54:55], v[vgprValuC+224], v10    // check NaN and +/-INF
v_med3_f32 v6, v[vgprValuC+224], v8, v9            // Clipping f32 value if exceeds the limit
v_cndmask_b32 v6, v6, v[vgprValuC+224], s[54:55]   // 
v_cmp_class_f32 s[54:55], v[vgprValuC+225], v10    // check NaN and +/-INF
v_med3_f32 v7, v[vgprValuC+225], v8, v9            // Clipping f32 value if exceeds the limit
v_cndmask_b32 v7, v7, v[vgprValuC+225], s[54:55]   // 
v_cvt_pk_bf8_f32  v224, v6, v7 op_sel:[0,0,0]      // convert two f32 accumulated values to fp8 and save it to lo_16[0:15]
v_cmp_class_f32 s[54:55], v[vgprValuC+226], v10    // check NaN and +/-INF
v_med3_f32 v6, v[vgprValuC+226], v8, v9            // Clipping f32 value if exceeds the limit
v_cndmask_b32 v6, v6, v[vgprValuC+226], s[54:55]   // 
v_cmp_class_f32 s[54:55], v[vgprValuC+227], v10    // check NaN and +/-INF
v_med3_f32 v7, v[vgprValuC+227], v8, v9            // Clipping f32 value if exceeds the limit
v_cndmask_b32 v7, v7, v[vgprValuC+227], s[54:55]   // 
v_cvt_pk_bf8_f32  v224, v6, v7 op_sel:[0,0,1]      // convert two f32 accumulated values to fp8 and save it to hi_16[16:31]
v_cmp_class_f32 s[54:55], v[vgprValuC+228], v10    // check NaN and +/-INF
v_med3_f32 v6, v[vgprValuC+228], v8, v9            // Clipping f32 value if exceeds the limit
v_cndmask_b32 v6, v6, v[vgprValuC+228], s[54:55]   // 
v_cmp_class_f32 s[54:55], v[vgprValuC+229], v10    // check NaN and +/-INF
v_med3_f32 v7, v[vgprValuC+229], v8, v9            // Clipping f32 value if exceeds the limit
v_cndmask_b32 v7, v7, v[vgprValuC+229], s[54:55]   // 
v_cvt_pk_bf8_f32  v225, v6, v7 op_sel:[0,0,0]      // convert two f32 accumulated values to fp8 and save it to lo_16[0:15]
v_cmp_class_f32 s[54:55], v[vgprValuC+230], v10    // check NaN and +/-INF
v_med3_f32 v6, v[vgprValuC+230], v8, v9            // Clipping f32 value if exceeds the limit
v_cndmask_b32 v6, v6, v[vgprValuC+230], s[54:55]   // 
v_cmp_class_f32 s[54:55], v[vgprValuC+231], v10    // check NaN and +/-INF
v_med3_f32 v7, v[vgprValuC+231], v8, v9            // Clipping f32 value if exceeds the limit
v_cndmask_b32 v7, v7, v[vgprValuC+231], s[54:55]   // 
v_cvt_pk_bf8_f32  v225, v6, v7 op_sel:[0,0,1]      // convert two f32 accumulated values to fp8 and save it to hi_16[16:31]
s_lshl_b32  s54, s[sgprStrideD1J], 0               // incToNextRow: Scale by BPE
s_add_u32  s[sgprSrdD+0], s[sgprSrdD+0], s54       // incToNextRow: gra SRD += inc(lower)
s_addc_u32  s[sgprSrdD+1], s[sgprSrdD+1], 0        // incToNextRow: gra SRD += inc(upper)
_buffer_store_b64 v[224:225], v11, s[sgprSrdD:sgprSrdD+3], 0, offen, offset:0,  sc0 sc1 // store D
v_cmp_class_f32 s[54:55], v[vgprValuC+232], v10    // check NaN and +/-INF
v_med3_f32 v6, v[vgprValuC+232], v8, v9            // Clipping f32 value if exceeds the limit
v_cndmask_b32 v6, v6, v[vgprValuC+232], s[54:55]   // 
v_cmp_class_f32 s[54:55], v[vgprValuC+233], v10    // check NaN and +/-INF
v_med3_f32 v7, v[vgprValuC+233], v8, v9            // Clipping f32 value if exceeds the limit
v_cndmask_b32 v7, v7, v[vgprValuC+233], s[54:55]   // 
v_cvt_pk_bf8_f32  v232, v6, v7 op_sel:[0,0,0]      // convert two f32 accumulated values to fp8 and save it to lo_16[0:15]
v_cmp_class_f32 s[54:55], v[vgprValuC+234], v10    // check NaN and +/-INF
v_med3_f32 v6, v[vgprValuC+234], v8, v9            // Clipping f32 value if exceeds the limit
v_cndmask_b32 v6, v6, v[vgprValuC+234], s[54:55]   // 
v_cmp_class_f32 s[54:55], v[vgprValuC+235], v10    // check NaN and +/-INF
v_med3_f32 v7, v[vgprValuC+235], v8, v9            // Clipping f32 value if exceeds the limit
v_cndmask_b32 v7, v7, v[vgprValuC+235], s[54:55]   // 
v_cvt_pk_bf8_f32  v232, v6, v7 op_sel:[0,0,1]      // convert two f32 accumulated values to fp8 and save it to hi_16[16:31]
v_cmp_class_f32 s[54:55], v[vgprValuC+236], v10    // check NaN and +/-INF
v_med3_f32 v6, v[vgprValuC+236], v8, v9            // Clipping f32 value if exceeds the limit
v_cndmask_b32 v6, v6, v[vgprValuC+236], s[54:55]   // 
v_cmp_class_f32 s[54:55], v[vgprValuC+237], v10    // check NaN and +/-INF
v_med3_f32 v7, v[vgprValuC+237], v8, v9            // Clipping f32 value if exceeds the limit
v_cndmask_b32 v7, v7, v[vgprValuC+237], s[54:55]   // 
v_cvt_pk_bf8_f32  v233, v6, v7 op_sel:[0,0,0]      // convert two f32 accumulated values to fp8 and save it to lo_16[0:15]
v_cmp_class_f32 s[54:55], v[vgprValuC+238], v10    // check NaN and +/-INF
v_med3_f32 v6, v[vgprValuC+238], v8, v9            // Clipping f32 value if exceeds the limit
v_cndmask_b32 v6, v6, v[vgprValuC+238], s[54:55]   // 
v_cmp_class_f32 s[54:55], v[vgprValuC+239], v10    // check NaN and +/-INF
v_med3_f32 v7, v[vgprValuC+239], v8, v9            // Clipping f32 value if exceeds the limit
v_cndmask_b32 v7, v7, v[vgprValuC+239], s[54:55]   // 
v_cvt_pk_bf8_f32  v233, v6, v7 op_sel:[0,0,1]      // convert two f32 accumulated values to fp8 and save it to hi_16[16:31]
s_lshl_b32  s54, s[sgprStrideD1J], 0               // incToNextRow: Scale by BPE
s_add_u32  s[sgprSrdD+0], s[sgprSrdD+0], s54       // incToNextRow: gra SRD += inc(lower)
s_addc_u32  s[sgprSrdD+1], s[sgprSrdD+1], 0        // incToNextRow: gra SRD += inc(upper)
_buffer_store_b64 v[232:233], v11, s[sgprSrdD:sgprSrdD+3], 0, offen, offset:0,  sc0 sc1 // store D
s_nop 0                                            // 1 wait state required when next inst writes vgprs held by previous dwordx4 store inst
s_branch label_GW_End_42                           // jump to end
GW_B0_E1_34:

/* edge=1, allocate 6 sgpr. perBatchTmpS=4 perBatchMaskS=2 perElementMaskS=0 elementsPerBatch=25 */
/* optSingleColVgpr=0 optSharedColVgpr=0 optSGPRUsage=BufferLoad_Edge_Mask optSrdIncForRow=0 */

/******************************************/
/* Global Write Alpha Edge Batch #0 (d1,d0,vc1,vc0) = */
/*    (0,0,0,0:vw8); (0,0,1,0:vw8); (0,0,2,0:vw8); (0,0,3,0:vw8); (1,0,0,0:vw8); (1,0,1,0:vw8); (1,0,2,0:vw8); (1,0,3,0:vw8); (2,0,0,0:vw8); (2,0,1,0:vw8); (2,0,2,0:vw8); (2,0,3,0:vw8); (3,0,0,0:vw8); (3,0,1,0:vw8); (3,0,2,0:vw8); (3,0,3,0:vw8); (4,0,0,0:vw8); (4,0,1,0:vw8); (4,0,2,0:vw8); (4,0,3,0:vw8); (5,0,0,0:vw8); (5,0,1,0:vw8); (5,0,2,0:vw8); (5,0,3,0:vw8); (6,0,0,0:vw8) */
/******************************************/

/* calc coords, apply mask, and issue loads (if necessary) */
/* (d1,vc1,d0,vc0)=(0,0,0,0) */
v_cmp_lt_u32 s[54:55], v0, s[sgprSizeI]            // coord0 < size0
v_cmp_lt_u32 s[58:59], v1, s[sgprSizeJ]            // coord1 < size1
s_and_b64 s[58:59], s[54:55], s[58:59]             // in0 && in1
_v_add_lshl_u32 v11, v3, v0, 0x0                   // scaleToBpe: accumulate d0 lower and *= bpe into Cin addr
v_cndmask_b32 v11, -1, v11, s[58:59]               // LDD clip if OOB. offset
/* (d1,vc1,d0,vc0)=(0,1,0,0) */
_v_add_co_u32 v1, vcc, v1, 1                       // coord1.1: coord1Vgpr += d1*sg1*VW + vc1

/* Fix for UseInitialStridesCD, emitAddressSetupCode */
_v_add_u32 v2, v2, s[sgprStrideC1J]                // ROWINC- Move cinRowPtr to next row
_v_add_u32 v3, v3, s[sgprStrideD1J]                // Move coutRowPtr to next row
v_cmp_lt_u32 s[54:55], v0, s[sgprSizeI]            // coord0 < size0
v_cmp_lt_u32 s[58:59], v1, s[sgprSizeJ]            // coord1 < size1
s_and_b64 s[58:59], s[54:55], s[58:59]             // in0 && in1
_v_add_lshl_u32 v12, v3, v0, 0x0                   // scaleToBpe: accumulate d0 lower and *= bpe into Cin addr
v_cndmask_b32 v12, -1, v12, s[58:59]               // LDD clip if OOB. offset
/* (d1,vc1,d0,vc0)=(0,2,0,0) */
_v_add_co_u32 v1, vcc, v1, 1                       // coord1.1: coord1Vgpr += d1*sg1*VW + vc1

/* Fix for UseInitialStridesCD, emitAddressSetupCode */
_v_add_u32 v2, v2, s[sgprStrideC1J]                // ROWINC- Move cinRowPtr to next row
_v_add_u32 v3, v3, s[sgprStrideD1J]                // Move coutRowPtr to next row
v_cmp_lt_u32 s[54:55], v0, s[sgprSizeI]            // coord0 < size0
v_cmp_lt_u32 s[58:59], v1, s[sgprSizeJ]            // coord1 < size1
s_and_b64 s[58:59], s[54:55], s[58:59]             // in0 && in1
_v_add_lshl_u32 v13, v3, v0, 0x0                   // scaleToBpe: accumulate d0 lower and *= bpe into Cin addr
v_cndmask_b32 v13, -1, v13, s[58:59]               // LDD clip if OOB. offset
/* (d1,vc1,d0,vc0)=(0,3,0,0) */
_v_add_co_u32 v1, vcc, v1, 1                       // coord1.1: coord1Vgpr += d1*sg1*VW + vc1

/* Fix for UseInitialStridesCD, emitAddressSetupCode */
_v_add_u32 v2, v2, s[sgprStrideC1J]                // ROWINC- Move cinRowPtr to next row
_v_add_u32 v3, v3, s[sgprStrideD1J]                // Move coutRowPtr to next row
v_cmp_lt_u32 s[54:55], v0, s[sgprSizeI]            // coord0 < size0
v_cmp_lt_u32 s[58:59], v1, s[sgprSizeJ]            // coord1 < size1
s_and_b64 s[58:59], s[54:55], s[58:59]             // in0 && in1
_v_add_lshl_u32 v14, v3, v0, 0x0                   // scaleToBpe: accumulate d0 lower and *= bpe into Cin addr
v_cndmask_b32 v14, -1, v14, s[58:59]               // LDD clip if OOB. offset
/* (d1,vc1,d0,vc0)=(1,0,0,0) */
_v_add_co_u32 v1, vcc, v1, 29                      // coord1.1: coord1Vgpr += d1*sg1*VW + vc1

/* Fix for UseInitialStridesCD, emitAddressSetupCode */
s_mul_i32 s54, s[sgprStrideC1J], 29                // scale stride
_v_add_u32 v2, v2, s54                             // ROWINC- Move cinRowPtr to next row
s_mul_i32 s54, s[sgprStrideD1J], 29                // scale stride
_v_add_u32 v3, v3, s54                             // Move coutRowPtr to next row
v_cmp_lt_u32 s[54:55], v0, s[sgprSizeI]            // coord0 < size0
v_cmp_lt_u32 s[58:59], v1, s[sgprSizeJ]            // coord1 < size1
s_and_b64 s[58:59], s[54:55], s[58:59]             // in0 && in1
_v_add_lshl_u32 v15, v3, v0, 0x0                   // scaleToBpe: accumulate d0 lower and *= bpe into Cin addr
v_cndmask_b32 v15, -1, v15, s[58:59]               // LDD clip if OOB. offset
/* (d1,vc1,d0,vc0)=(1,1,0,0) */
_v_add_co_u32 v1, vcc, v1, 1                       // coord1.1: coord1Vgpr += d1*sg1*VW + vc1

/* Fix for UseInitialStridesCD, emitAddressSetupCode */
_v_add_u32 v2, v2, s[sgprStrideC1J]                // ROWINC- Move cinRowPtr to next row
_v_add_u32 v3, v3, s[sgprStrideD1J]                // Move coutRowPtr to next row
v_cmp_lt_u32 s[54:55], v0, s[sgprSizeI]            // coord0 < size0
v_cmp_lt_u32 s[58:59], v1, s[sgprSizeJ]            // coord1 < size1
s_and_b64 s[58:59], s[54:55], s[58:59]             // in0 && in1
_v_add_lshl_u32 v56, v3, v0, 0x0                   // scaleToBpe: accumulate d0 lower and *= bpe into Cin addr
v_cndmask_b32 v56, -1, v56, s[58:59]               // LDD clip if OOB. offset
/* (d1,vc1,d0,vc0)=(1,2,0,0) */
_v_add_co_u32 v1, vcc, v1, 1                       // coord1.1: coord1Vgpr += d1*sg1*VW + vc1

/* Fix for UseInitialStridesCD, emitAddressSetupCode */
_v_add_u32 v2, v2, s[sgprStrideC1J]                // ROWINC- Move cinRowPtr to next row
_v_add_u32 v3, v3, s[sgprStrideD1J]                // Move coutRowPtr to next row
v_cmp_lt_u32 s[54:55], v0, s[sgprSizeI]            // coord0 < size0
v_cmp_lt_u32 s[58:59], v1, s[sgprSizeJ]            // coord1 < size1
s_and_b64 s[58:59], s[54:55], s[58:59]             // in0 && in1
_v_add_lshl_u32 v57, v3, v0, 0x0                   // scaleToBpe: accumulate d0 lower and *= bpe into Cin addr
v_cndmask_b32 v57, -1, v57, s[58:59]               // LDD clip if OOB. offset
/* (d1,vc1,d0,vc0)=(1,3,0,0) */
_v_add_co_u32 v1, vcc, v1, 1                       // coord1.1: coord1Vgpr += d1*sg1*VW + vc1

/* Fix for UseInitialStridesCD, emitAddressSetupCode */
_v_add_u32 v2, v2, s[sgprStrideC1J]                // ROWINC- Move cinRowPtr to next row
_v_add_u32 v3, v3, s[sgprStrideD1J]                // Move coutRowPtr to next row
v_cmp_lt_u32 s[54:55], v0, s[sgprSizeI]            // coord0 < size0
v_cmp_lt_u32 s[58:59], v1, s[sgprSizeJ]            // coord1 < size1
s_and_b64 s[58:59], s[54:55], s[58:59]             // in0 && in1
_v_add_lshl_u32 v58, v3, v0, 0x0                   // scaleToBpe: accumulate d0 lower and *= bpe into Cin addr
v_cndmask_b32 v58, -1, v58, s[58:59]               // LDD clip if OOB. offset
/* (d1,vc1,d0,vc0)=(2,0,0,0) */
_v_add_co_u32 v1, vcc, v1, 29                      // coord1.1: coord1Vgpr += d1*sg1*VW + vc1

/* Fix for UseInitialStridesCD, emitAddressSetupCode */
s_mul_i32 s54, s[sgprStrideC1J], 29                // scale stride
_v_add_u32 v2, v2, s54                             // ROWINC- Move cinRowPtr to next row
s_mul_i32 s54, s[sgprStrideD1J], 29                // scale stride
_v_add_u32 v3, v3, s54                             // Move coutRowPtr to next row
	;; [unrolled: 46-line block ×3, first 2 shown]
v_cmp_lt_u32 s[54:55], v0, s[sgprSizeI]            // coord0 < size0
v_cmp_lt_u32 s[58:59], v1, s[sgprSizeJ]            // coord1 < size1
s_and_b64 s[58:59], s[54:55], s[58:59]             // in0 && in1
_v_add_lshl_u32 v63, v3, v0, 0x0                   // scaleToBpe: accumulate d0 lower and *= bpe into Cin addr
v_cndmask_b32 v63, -1, v63, s[58:59]               // LDD clip if OOB. offset
/* (d1,vc1,d0,vc0)=(3,1,0,0) */
_v_add_co_u32 v1, vcc, v1, 1                       // coord1.1: coord1Vgpr += d1*sg1*VW + vc1

/* Fix for UseInitialStridesCD, emitAddressSetupCode */
_v_add_u32 v2, v2, s[sgprStrideC1J]                // ROWINC- Move cinRowPtr to next row
_v_add_u32 v3, v3, s[sgprStrideD1J]                // Move coutRowPtr to next row
v_cmp_lt_u32 s[54:55], v0, s[sgprSizeI]            // coord0 < size0
v_cmp_lt_u32 s[58:59], v1, s[sgprSizeJ]            // coord1 < size1
s_and_b64 s[58:59], s[54:55], s[58:59]             // in0 && in1
_v_add_lshl_u32 v128, v3, v0, 0x0                  // scaleToBpe: accumulate d0 lower and *= bpe into Cin addr
v_cndmask_b32 v128, -1, v128, s[58:59]             // LDD clip if OOB. offset
/* (d1,vc1,d0,vc0)=(3,2,0,0) */
_v_add_co_u32 v1, vcc, v1, 1                       // coord1.1: coord1Vgpr += d1*sg1*VW + vc1

/* Fix for UseInitialStridesCD, emitAddressSetupCode */
_v_add_u32 v2, v2, s[sgprStrideC1J]                // ROWINC- Move cinRowPtr to next row
_v_add_u32 v3, v3, s[sgprStrideD1J]                // Move coutRowPtr to next row
v_cmp_lt_u32 s[54:55], v0, s[sgprSizeI]            // coord0 < size0
v_cmp_lt_u32 s[58:59], v1, s[sgprSizeJ]            // coord1 < size1
s_and_b64 s[58:59], s[54:55], s[58:59]             // in0 && in1
_v_add_lshl_u32 v129, v3, v0, 0x0                  // scaleToBpe: accumulate d0 lower and *= bpe into Cin addr
v_cndmask_b32 v129, -1, v129, s[58:59]             // LDD clip if OOB. offset
/* (d1,vc1,d0,vc0)=(3,3,0,0) */
_v_add_co_u32 v1, vcc, v1, 1                       // coord1.1: coord1Vgpr += d1*sg1*VW + vc1

/* Fix for UseInitialStridesCD, emitAddressSetupCode */
_v_add_u32 v2, v2, s[sgprStrideC1J]                // ROWINC- Move cinRowPtr to next row
_v_add_u32 v3, v3, s[sgprStrideD1J]                // Move coutRowPtr to next row
v_cmp_lt_u32 s[54:55], v0, s[sgprSizeI]            // coord0 < size0
v_cmp_lt_u32 s[58:59], v1, s[sgprSizeJ]            // coord1 < size1
s_and_b64 s[58:59], s[54:55], s[58:59]             // in0 && in1
_v_add_lshl_u32 v130, v3, v0, 0x0                  // scaleToBpe: accumulate d0 lower and *= bpe into Cin addr
v_cndmask_b32 v130, -1, v130, s[58:59]             // LDD clip if OOB. offset
/* (d1,vc1,d0,vc0)=(4,0,0,0) */
_v_add_co_u32 v1, vcc, v1, 29                      // coord1.1: coord1Vgpr += d1*sg1*VW + vc1

/* Fix for UseInitialStridesCD, emitAddressSetupCode */
s_mul_i32 s54, s[sgprStrideC1J], 29                // scale stride
_v_add_u32 v2, v2, s54                             // ROWINC- Move cinRowPtr to next row
s_mul_i32 s54, s[sgprStrideD1J], 29                // scale stride
_v_add_u32 v3, v3, s54                             // Move coutRowPtr to next row
v_cmp_lt_u32 s[54:55], v0, s[sgprSizeI]            // coord0 < size0
v_cmp_lt_u32 s[58:59], v1, s[sgprSizeJ]            // coord1 < size1
s_and_b64 s[58:59], s[54:55], s[58:59]             // in0 && in1
_v_add_lshl_u32 v131, v3, v0, 0x0                  // scaleToBpe: accumulate d0 lower and *= bpe into Cin addr
v_cndmask_b32 v131, -1, v131, s[58:59]             // LDD clip if OOB. offset
/* (d1,vc1,d0,vc0)=(4,1,0,0) */
_v_add_co_u32 v1, vcc, v1, 1                       // coord1.1: coord1Vgpr += d1*sg1*VW + vc1

/* Fix for UseInitialStridesCD, emitAddressSetupCode */
_v_add_u32 v2, v2, s[sgprStrideC1J]                // ROWINC- Move cinRowPtr to next row
_v_add_u32 v3, v3, s[sgprStrideD1J]                // Move coutRowPtr to next row
v_cmp_lt_u32 s[54:55], v0, s[sgprSizeI]            // coord0 < size0
v_cmp_lt_u32 s[58:59], v1, s[sgprSizeJ]            // coord1 < size1
s_and_b64 s[58:59], s[54:55], s[58:59]             // in0 && in1
_v_add_lshl_u32 v132, v3, v0, 0x0                  // scaleToBpe: accumulate d0 lower and *= bpe into Cin addr
v_cndmask_b32 v132, -1, v132, s[58:59]             // LDD clip if OOB. offset
/* (d1,vc1,d0,vc0)=(4,2,0,0) */
_v_add_co_u32 v1, vcc, v1, 1                       // coord1.1: coord1Vgpr += d1*sg1*VW + vc1

/* Fix for UseInitialStridesCD, emitAddressSetupCode */
_v_add_u32 v2, v2, s[sgprStrideC1J]                // ROWINC- Move cinRowPtr to next row
_v_add_u32 v3, v3, s[sgprStrideD1J]                // Move coutRowPtr to next row
v_cmp_lt_u32 s[54:55], v0, s[sgprSizeI]            // coord0 < size0
v_cmp_lt_u32 s[58:59], v1, s[sgprSizeJ]            // coord1 < size1
s_and_b64 s[58:59], s[54:55], s[58:59]             // in0 && in1
_v_add_lshl_u32 v133, v3, v0, 0x0                  // scaleToBpe: accumulate d0 lower and *= bpe into Cin addr
v_cndmask_b32 v133, -1, v133, s[58:59]             // LDD clip if OOB. offset
/* (d1,vc1,d0,vc0)=(4,3,0,0) */
_v_add_co_u32 v1, vcc, v1, 1                       // coord1.1: coord1Vgpr += d1*sg1*VW + vc1

/* Fix for UseInitialStridesCD, emitAddressSetupCode */
_v_add_u32 v2, v2, s[sgprStrideC1J]                // ROWINC- Move cinRowPtr to next row
_v_add_u32 v3, v3, s[sgprStrideD1J]                // Move coutRowPtr to next row
v_cmp_lt_u32 s[54:55], v0, s[sgprSizeI]            // coord0 < size0
v_cmp_lt_u32 s[58:59], v1, s[sgprSizeJ]            // coord1 < size1
s_and_b64 s[58:59], s[54:55], s[58:59]             // in0 && in1
_v_add_lshl_u32 v134, v3, v0, 0x0                  // scaleToBpe: accumulate d0 lower and *= bpe into Cin addr
v_cndmask_b32 v134, -1, v134, s[58:59]             // LDD clip if OOB. offset
/* (d1,vc1,d0,vc0)=(5,0,0,0) */
_v_add_co_u32 v1, vcc, v1, 29                      // coord1.1: coord1Vgpr += d1*sg1*VW + vc1

/* Fix for UseInitialStridesCD, emitAddressSetupCode */
s_mul_i32 s54, s[sgprStrideC1J], 29                // scale stride
_v_add_u32 v2, v2, s54                             // ROWINC- Move cinRowPtr to next row
s_mul_i32 s54, s[sgprStrideD1J], 29                // scale stride
_v_add_u32 v3, v3, s54                             // Move coutRowPtr to next row
v_cmp_lt_u32 s[54:55], v0, s[sgprSizeI]            // coord0 < size0
v_cmp_lt_u32 s[58:59], v1, s[sgprSizeJ]            // coord1 < size1
s_and_b64 s[58:59], s[54:55], s[58:59]             // in0 && in1
_v_add_lshl_u32 v135, v3, v0, 0x0                  // scaleToBpe: accumulate d0 lower and *= bpe into Cin addr
v_cndmask_b32 v135, -1, v135, s[58:59]             // LDD clip if OOB. offset
	;; [unrolled: 46-line block ×3, first 2 shown]
v_accvgpr_read_b32 v[vgprValuC+16], acc0 // copy acc to vreg[0]
v_accvgpr_read_b32 v[vgprValuC+17], acc4 // copy acc to vreg[1]
v_accvgpr_read_b32 v[vgprValuC+18], acc8 // copy acc to vreg[2]
v_accvgpr_read_b32 v[vgprValuC+19], acc12 // copy acc to vreg[3]
v_accvgpr_read_b32 v[vgprValuC+20], acc16 // copy acc to vreg[4]
v_accvgpr_read_b32 v[vgprValuC+21], acc20 // copy acc to vreg[5]
v_accvgpr_read_b32 v[vgprValuC+22], acc24 // copy acc to vreg[6]
v_accvgpr_read_b32 v[vgprValuC+23], acc28 // copy acc to vreg[7]
v_accvgpr_read_b32 v[vgprValuC+24], acc1 // copy acc to vreg[8]
v_accvgpr_read_b32 v[vgprValuC+25], acc5 // copy acc to vreg[9]
v_accvgpr_read_b32 v[vgprValuC+26], acc9 // copy acc to vreg[10]
v_accvgpr_read_b32 v[vgprValuC+27], acc13 // copy acc to vreg[11]
v_accvgpr_read_b32 v[vgprValuC+28], acc17 // copy acc to vreg[12]
v_accvgpr_read_b32 v[vgprValuC+29], acc21 // copy acc to vreg[13]
v_accvgpr_read_b32 v[vgprValuC+30], acc25 // copy acc to vreg[14]
v_accvgpr_read_b32 v[vgprValuC+31], acc29 // copy acc to vreg[15]
v_accvgpr_read_b32 v[vgprValuC+32], acc2 // copy acc to vreg[16]
v_accvgpr_read_b32 v[vgprValuC+33], acc6 // copy acc to vreg[17]
v_accvgpr_read_b32 v[vgprValuC+34], acc10 // copy acc to vreg[18]
v_accvgpr_read_b32 v[vgprValuC+35], acc14 // copy acc to vreg[19]
v_accvgpr_read_b32 v[vgprValuC+36], acc18 // copy acc to vreg[20]
v_accvgpr_read_b32 v[vgprValuC+37], acc22 // copy acc to vreg[21]
v_accvgpr_read_b32 v[vgprValuC+38], acc26 // copy acc to vreg[22]
v_accvgpr_read_b32 v[vgprValuC+39], acc30 // copy acc to vreg[23]
v_accvgpr_read_b32 v[vgprValuC+40], acc3 // copy acc to vreg[24]
v_accvgpr_read_b32 v[vgprValuC+41], acc7 // copy acc to vreg[25]
v_accvgpr_read_b32 v[vgprValuC+42], acc11 // copy acc to vreg[26]
v_accvgpr_read_b32 v[vgprValuC+43], acc15 // copy acc to vreg[27]
v_accvgpr_read_b32 v[vgprValuC+44], acc19 // copy acc to vreg[28]
v_accvgpr_read_b32 v[vgprValuC+45], acc23 // copy acc to vreg[29]
v_accvgpr_read_b32 v[vgprValuC+46], acc27 // copy acc to vreg[30]
v_accvgpr_read_b32 v[vgprValuC+47], acc31 // copy acc to vreg[31]
v_accvgpr_read_b32 v[vgprValuC+48], acc32 // copy acc to vreg[32]
v_accvgpr_read_b32 v[vgprValuC+49], acc36 // copy acc to vreg[33]
v_accvgpr_read_b32 v[vgprValuC+50], acc40 // copy acc to vreg[34]
v_accvgpr_read_b32 v[vgprValuC+51], acc44 // copy acc to vreg[35]
v_accvgpr_read_b32 v[vgprValuC+52], acc48 // copy acc to vreg[36]
v_accvgpr_read_b32 v[vgprValuC+53], acc52 // copy acc to vreg[37]
v_accvgpr_read_b32 v[vgprValuC+54], acc56 // copy acc to vreg[38]
v_accvgpr_read_b32 v[vgprValuC+55], acc60 // copy acc to vreg[39]
v_accvgpr_read_b32 v[vgprValuC+64], acc33 // copy acc to vreg[40]
v_accvgpr_read_b32 v[vgprValuC+65], acc37 // copy acc to vreg[41]
v_accvgpr_read_b32 v[vgprValuC+66], acc41 // copy acc to vreg[42]
v_accvgpr_read_b32 v[vgprValuC+67], acc45 // copy acc to vreg[43]
v_accvgpr_read_b32 v[vgprValuC+68], acc49 // copy acc to vreg[44]
v_accvgpr_read_b32 v[vgprValuC+69], acc53 // copy acc to vreg[45]
v_accvgpr_read_b32 v[vgprValuC+70], acc57 // copy acc to vreg[46]
v_accvgpr_read_b32 v[vgprValuC+71], acc61 // copy acc to vreg[47]
v_accvgpr_read_b32 v[vgprValuC+72], acc34 // copy acc to vreg[48]
v_accvgpr_read_b32 v[vgprValuC+73], acc38 // copy acc to vreg[49]
v_accvgpr_read_b32 v[vgprValuC+74], acc42 // copy acc to vreg[50]
v_accvgpr_read_b32 v[vgprValuC+75], acc46 // copy acc to vreg[51]
v_accvgpr_read_b32 v[vgprValuC+76], acc50 // copy acc to vreg[52]
v_accvgpr_read_b32 v[vgprValuC+77], acc54 // copy acc to vreg[53]
v_accvgpr_read_b32 v[vgprValuC+78], acc58 // copy acc to vreg[54]
v_accvgpr_read_b32 v[vgprValuC+79], acc62 // copy acc to vreg[55]
v_accvgpr_read_b32 v[vgprValuC+80], acc35 // copy acc to vreg[56]
v_accvgpr_read_b32 v[vgprValuC+81], acc39 // copy acc to vreg[57]
v_accvgpr_read_b32 v[vgprValuC+82], acc43 // copy acc to vreg[58]
v_accvgpr_read_b32 v[vgprValuC+83], acc47 // copy acc to vreg[59]
v_accvgpr_read_b32 v[vgprValuC+84], acc51 // copy acc to vreg[60]
v_accvgpr_read_b32 v[vgprValuC+85], acc55 // copy acc to vreg[61]
v_accvgpr_read_b32 v[vgprValuC+86], acc59 // copy acc to vreg[62]
v_accvgpr_read_b32 v[vgprValuC+87], acc63 // copy acc to vreg[63]
v_accvgpr_read_b32 v[vgprValuC+88], acc64 // copy acc to vreg[64]
v_accvgpr_read_b32 v[vgprValuC+89], acc68 // copy acc to vreg[65]
v_accvgpr_read_b32 v[vgprValuC+90], acc72 // copy acc to vreg[66]
v_accvgpr_read_b32 v[vgprValuC+91], acc76 // copy acc to vreg[67]
v_accvgpr_read_b32 v[vgprValuC+92], acc80 // copy acc to vreg[68]
v_accvgpr_read_b32 v[vgprValuC+93], acc84 // copy acc to vreg[69]
v_accvgpr_read_b32 v[vgprValuC+94], acc88 // copy acc to vreg[70]
v_accvgpr_read_b32 v[vgprValuC+95], acc92 // copy acc to vreg[71]
v_accvgpr_read_b32 v[vgprValuC+96], acc65 // copy acc to vreg[72]
v_accvgpr_read_b32 v[vgprValuC+97], acc69 // copy acc to vreg[73]
v_accvgpr_read_b32 v[vgprValuC+98], acc73 // copy acc to vreg[74]
v_accvgpr_read_b32 v[vgprValuC+99], acc77 // copy acc to vreg[75]
v_accvgpr_read_b32 v[vgprValuC+100], acc81 // copy acc to vreg[76]
v_accvgpr_read_b32 v[vgprValuC+101], acc85 // copy acc to vreg[77]
v_accvgpr_read_b32 v[vgprValuC+102], acc89 // copy acc to vreg[78]
v_accvgpr_read_b32 v[vgprValuC+103], acc93 // copy acc to vreg[79]
v_accvgpr_read_b32 v[vgprValuC+104], acc66 // copy acc to vreg[80]
v_accvgpr_read_b32 v[vgprValuC+105], acc70 // copy acc to vreg[81]
v_accvgpr_read_b32 v[vgprValuC+106], acc74 // copy acc to vreg[82]
v_accvgpr_read_b32 v[vgprValuC+107], acc78 // copy acc to vreg[83]
v_accvgpr_read_b32 v[vgprValuC+108], acc82 // copy acc to vreg[84]
v_accvgpr_read_b32 v[vgprValuC+109], acc86 // copy acc to vreg[85]
v_accvgpr_read_b32 v[vgprValuC+110], acc90 // copy acc to vreg[86]
v_accvgpr_read_b32 v[vgprValuC+111], acc94 // copy acc to vreg[87]
v_accvgpr_read_b32 v[vgprValuC+112], acc67 // copy acc to vreg[88]
v_accvgpr_read_b32 v[vgprValuC+113], acc71 // copy acc to vreg[89]
v_accvgpr_read_b32 v[vgprValuC+114], acc75 // copy acc to vreg[90]
v_accvgpr_read_b32 v[vgprValuC+115], acc79 // copy acc to vreg[91]
v_accvgpr_read_b32 v[vgprValuC+116], acc83 // copy acc to vreg[92]
v_accvgpr_read_b32 v[vgprValuC+117], acc87 // copy acc to vreg[93]
v_accvgpr_read_b32 v[vgprValuC+118], acc91 // copy acc to vreg[94]
v_accvgpr_read_b32 v[vgprValuC+119], acc95 // copy acc to vreg[95]
v_accvgpr_read_b32 v[vgprValuC+120], acc96 // copy acc to vreg[96]
v_accvgpr_read_b32 v[vgprValuC+121], acc100 // copy acc to vreg[97]
v_accvgpr_read_b32 v[vgprValuC+122], acc104 // copy acc to vreg[98]
v_accvgpr_read_b32 v[vgprValuC+123], acc108 // copy acc to vreg[99]
v_accvgpr_read_b32 v[vgprValuC+124], acc112 // copy acc to vreg[100]
v_accvgpr_read_b32 v[vgprValuC+125], acc116 // copy acc to vreg[101]
v_accvgpr_read_b32 v[vgprValuC+126], acc120 // copy acc to vreg[102]
v_accvgpr_read_b32 v[vgprValuC+127], acc124 // copy acc to vreg[103]
v_accvgpr_read_b32 v[vgprValuC+136], acc97 // copy acc to vreg[104]
v_accvgpr_read_b32 v[vgprValuC+137], acc101 // copy acc to vreg[105]
v_accvgpr_read_b32 v[vgprValuC+138], acc105 // copy acc to vreg[106]
v_accvgpr_read_b32 v[vgprValuC+139], acc109 // copy acc to vreg[107]
v_accvgpr_read_b32 v[vgprValuC+140], acc113 // copy acc to vreg[108]
v_accvgpr_read_b32 v[vgprValuC+141], acc117 // copy acc to vreg[109]
v_accvgpr_read_b32 v[vgprValuC+142], acc121 // copy acc to vreg[110]
v_accvgpr_read_b32 v[vgprValuC+143], acc125 // copy acc to vreg[111]
v_accvgpr_read_b32 v[vgprValuC+144], acc98 // copy acc to vreg[112]
v_accvgpr_read_b32 v[vgprValuC+145], acc102 // copy acc to vreg[113]
v_accvgpr_read_b32 v[vgprValuC+146], acc106 // copy acc to vreg[114]
v_accvgpr_read_b32 v[vgprValuC+147], acc110 // copy acc to vreg[115]
v_accvgpr_read_b32 v[vgprValuC+148], acc114 // copy acc to vreg[116]
v_accvgpr_read_b32 v[vgprValuC+149], acc118 // copy acc to vreg[117]
v_accvgpr_read_b32 v[vgprValuC+150], acc122 // copy acc to vreg[118]
v_accvgpr_read_b32 v[vgprValuC+151], acc126 // copy acc to vreg[119]
v_accvgpr_read_b32 v[vgprValuC+152], acc99 // copy acc to vreg[120]
v_accvgpr_read_b32 v[vgprValuC+153], acc103 // copy acc to vreg[121]
v_accvgpr_read_b32 v[vgprValuC+154], acc107 // copy acc to vreg[122]
v_accvgpr_read_b32 v[vgprValuC+155], acc111 // copy acc to vreg[123]
v_accvgpr_read_b32 v[vgprValuC+156], acc115 // copy acc to vreg[124]
v_accvgpr_read_b32 v[vgprValuC+157], acc119 // copy acc to vreg[125]
v_accvgpr_read_b32 v[vgprValuC+158], acc123 // copy acc to vreg[126]
v_accvgpr_read_b32 v[vgprValuC+159], acc127 // copy acc to vreg[127]
v_accvgpr_read_b32 v[vgprValuC+160], acc128 // copy acc to vreg[128]
v_accvgpr_read_b32 v[vgprValuC+161], acc132 // copy acc to vreg[129]
v_accvgpr_read_b32 v[vgprValuC+162], acc136 // copy acc to vreg[130]
v_accvgpr_read_b32 v[vgprValuC+163], acc140 // copy acc to vreg[131]
v_accvgpr_read_b32 v[vgprValuC+164], acc144 // copy acc to vreg[132]
v_accvgpr_read_b32 v[vgprValuC+165], acc148 // copy acc to vreg[133]
v_accvgpr_read_b32 v[vgprValuC+166], acc152 // copy acc to vreg[134]
v_accvgpr_read_b32 v[vgprValuC+167], acc156 // copy acc to vreg[135]
v_accvgpr_read_b32 v[vgprValuC+168], acc129 // copy acc to vreg[136]
v_accvgpr_read_b32 v[vgprValuC+169], acc133 // copy acc to vreg[137]
v_accvgpr_read_b32 v[vgprValuC+170], acc137 // copy acc to vreg[138]
v_accvgpr_read_b32 v[vgprValuC+171], acc141 // copy acc to vreg[139]
v_accvgpr_read_b32 v[vgprValuC+172], acc145 // copy acc to vreg[140]
v_accvgpr_read_b32 v[vgprValuC+173], acc149 // copy acc to vreg[141]
v_accvgpr_read_b32 v[vgprValuC+174], acc153 // copy acc to vreg[142]
v_accvgpr_read_b32 v[vgprValuC+175], acc157 // copy acc to vreg[143]
v_accvgpr_read_b32 v[vgprValuC+176], acc130 // copy acc to vreg[144]
v_accvgpr_read_b32 v[vgprValuC+177], acc134 // copy acc to vreg[145]
v_accvgpr_read_b32 v[vgprValuC+178], acc138 // copy acc to vreg[146]
v_accvgpr_read_b32 v[vgprValuC+179], acc142 // copy acc to vreg[147]
v_accvgpr_read_b32 v[vgprValuC+180], acc146 // copy acc to vreg[148]
v_accvgpr_read_b32 v[vgprValuC+181], acc150 // copy acc to vreg[149]
v_accvgpr_read_b32 v[vgprValuC+182], acc154 // copy acc to vreg[150]
v_accvgpr_read_b32 v[vgprValuC+183], acc158 // copy acc to vreg[151]
v_accvgpr_read_b32 v[vgprValuC+184], acc131 // copy acc to vreg[152]
v_accvgpr_read_b32 v[vgprValuC+185], acc135 // copy acc to vreg[153]
v_accvgpr_read_b32 v[vgprValuC+186], acc139 // copy acc to vreg[154]
v_accvgpr_read_b32 v[vgprValuC+187], acc143 // copy acc to vreg[155]
v_accvgpr_read_b32 v[vgprValuC+188], acc147 // copy acc to vreg[156]
v_accvgpr_read_b32 v[vgprValuC+189], acc151 // copy acc to vreg[157]
v_accvgpr_read_b32 v[vgprValuC+190], acc155 // copy acc to vreg[158]
v_accvgpr_read_b32 v[vgprValuC+191], acc159 // copy acc to vreg[159]
v_accvgpr_read_b32 v[vgprValuC+192], acc160 // copy acc to vreg[160]
v_accvgpr_read_b32 v[vgprValuC+193], acc164 // copy acc to vreg[161]
v_accvgpr_read_b32 v[vgprValuC+194], acc168 // copy acc to vreg[162]
v_accvgpr_read_b32 v[vgprValuC+195], acc172 // copy acc to vreg[163]
v_accvgpr_read_b32 v[vgprValuC+196], acc176 // copy acc to vreg[164]
v_accvgpr_read_b32 v[vgprValuC+197], acc180 // copy acc to vreg[165]
v_accvgpr_read_b32 v[vgprValuC+198], acc184 // copy acc to vreg[166]
v_accvgpr_read_b32 v[vgprValuC+199], acc188 // copy acc to vreg[167]
v_accvgpr_read_b32 v[vgprValuC+208], acc161 // copy acc to vreg[168]
v_accvgpr_read_b32 v[vgprValuC+209], acc165 // copy acc to vreg[169]
v_accvgpr_read_b32 v[vgprValuC+210], acc169 // copy acc to vreg[170]
v_accvgpr_read_b32 v[vgprValuC+211], acc173 // copy acc to vreg[171]
v_accvgpr_read_b32 v[vgprValuC+212], acc177 // copy acc to vreg[172]
v_accvgpr_read_b32 v[vgprValuC+213], acc181 // copy acc to vreg[173]
v_accvgpr_read_b32 v[vgprValuC+214], acc185 // copy acc to vreg[174]
v_accvgpr_read_b32 v[vgprValuC+215], acc189 // copy acc to vreg[175]
v_accvgpr_read_b32 v[vgprValuC+216], acc162 // copy acc to vreg[176]
v_accvgpr_read_b32 v[vgprValuC+217], acc166 // copy acc to vreg[177]
v_accvgpr_read_b32 v[vgprValuC+218], acc170 // copy acc to vreg[178]
v_accvgpr_read_b32 v[vgprValuC+219], acc174 // copy acc to vreg[179]
v_accvgpr_read_b32 v[vgprValuC+220], acc178 // copy acc to vreg[180]
v_accvgpr_read_b32 v[vgprValuC+221], acc182 // copy acc to vreg[181]
v_accvgpr_read_b32 v[vgprValuC+222], acc186 // copy acc to vreg[182]
v_accvgpr_read_b32 v[vgprValuC+223], acc190 // copy acc to vreg[183]
v_accvgpr_read_b32 v[vgprValuC+224], acc163 // copy acc to vreg[184]
v_accvgpr_read_b32 v[vgprValuC+225], acc167 // copy acc to vreg[185]
v_accvgpr_read_b32 v[vgprValuC+226], acc171 // copy acc to vreg[186]
v_accvgpr_read_b32 v[vgprValuC+227], acc175 // copy acc to vreg[187]
v_accvgpr_read_b32 v[vgprValuC+228], acc179 // copy acc to vreg[188]
v_accvgpr_read_b32 v[vgprValuC+229], acc183 // copy acc to vreg[189]
v_accvgpr_read_b32 v[vgprValuC+230], acc187 // copy acc to vreg[190]
v_accvgpr_read_b32 v[vgprValuC+231], acc191 // copy acc to vreg[191]
v_accvgpr_read_b32 v[vgprValuC+232], acc192 // copy acc to vreg[192]
v_accvgpr_read_b32 v[vgprValuC+233], acc196 // copy acc to vreg[193]
v_accvgpr_read_b32 v[vgprValuC+234], acc200 // copy acc to vreg[194]
v_accvgpr_read_b32 v[vgprValuC+235], acc204 // copy acc to vreg[195]
v_accvgpr_read_b32 v[vgprValuC+236], acc208 // copy acc to vreg[196]
v_accvgpr_read_b32 v[vgprValuC+237], acc212 // copy acc to vreg[197]
v_accvgpr_read_b32 v[vgprValuC+238], acc216 // copy acc to vreg[198]
v_accvgpr_read_b32 v[vgprValuC+239], acc220 // copy acc to vreg[199]
s_nop 1                                            // 2 wait states required before reading vgpr

/* rC *= alpha batchElements=[(0, 0, 0, 0), (0, 0, 1, 0), (0, 0, 2, 0), (0, 0, 3, 0), (1, 0, 0, 0), (1, 0, 1, 0), (1, 0, 2, 0), (1, 0, 3, 0), (2, 0, 0, 0), (2, 0, 1, 0), (2, 0, 2, 0), (2, 0, 3, 0), (3, 0, 0, 0), (3, 0, 1, 0), (3, 0, 2, 0), (3, 0, 3, 0), (4, 0, 0, 0), (4, 0, 1, 0), (4, 0, 2, 0), (4, 0, 3, 0), (5, 0, 0, 0), (5, 0, 1, 0), (5, 0, 2, 0), (5, 0, 3, 0), (6, 0, 0, 0)] */
v_mul_f32 v[vgprValuC+16], s[sgprAlpha], v[vgprValuC+16] // *= alpha
v_mul_f32 v[vgprValuC+17], s[sgprAlpha], v[vgprValuC+17] // *= alpha
	;; [unrolled: 1-line block ×200, first 2 shown]

/* apply mask, calc new C and issue writes */
v_mov_b32 v10, 0x207                               // flag for Nan and +/- inf
v_mov_b32 v8, 0x47600000                           // save 57344.0f as max for clipping
v_mov_b32 v9, 0xC7600000                           // save -57344`.0f as min for clipping
v_cmp_class_f32 s[54:55], v[vgprValuC+16], v10     // check NaN and +/-INF
v_med3_f32 v6, v[vgprValuC+16], v8, v9             // Clipping f32 value if exceeds the limit
v_cndmask_b32 v6, v6, v[vgprValuC+16], s[54:55]    // 
v_cmp_class_f32 s[54:55], v[vgprValuC+17], v10     // check NaN and +/-INF
v_med3_f32 v7, v[vgprValuC+17], v8, v9             // Clipping f32 value if exceeds the limit
v_cndmask_b32 v7, v7, v[vgprValuC+17], s[54:55]    // 
v_cvt_pk_bf8_f32  v16, v6, v7 op_sel:[0,0,0]       // convert two f32 accumulated values to fp8 and save it to lo_16[0:15]
v_cmp_class_f32 s[54:55], v[vgprValuC+18], v10     // check NaN and +/-INF
v_med3_f32 v6, v[vgprValuC+18], v8, v9             // Clipping f32 value if exceeds the limit
v_cndmask_b32 v6, v6, v[vgprValuC+18], s[54:55]    // 
v_cmp_class_f32 s[54:55], v[vgprValuC+19], v10     // check NaN and +/-INF
v_med3_f32 v7, v[vgprValuC+19], v8, v9             // Clipping f32 value if exceeds the limit
v_cndmask_b32 v7, v7, v[vgprValuC+19], s[54:55]    // 
v_cvt_pk_bf8_f32  v16, v6, v7 op_sel:[0,0,1]       // convert two f32 accumulated values to fp8 and save it to hi_16[16:31]
v_cmp_class_f32 s[54:55], v[vgprValuC+20], v10     // check NaN and +/-INF
v_med3_f32 v6, v[vgprValuC+20], v8, v9             // Clipping f32 value if exceeds the limit
v_cndmask_b32 v6, v6, v[vgprValuC+20], s[54:55]    // 
v_cmp_class_f32 s[54:55], v[vgprValuC+21], v10     // check NaN and +/-INF
v_med3_f32 v7, v[vgprValuC+21], v8, v9             // Clipping f32 value if exceeds the limit
v_cndmask_b32 v7, v7, v[vgprValuC+21], s[54:55]    // 
v_cvt_pk_bf8_f32  v17, v6, v7 op_sel:[0,0,0]       // convert two f32 accumulated values to fp8 and save it to lo_16[0:15]
v_cmp_class_f32 s[54:55], v[vgprValuC+22], v10     // check NaN and +/-INF
v_med3_f32 v6, v[vgprValuC+22], v8, v9             // Clipping f32 value if exceeds the limit
v_cndmask_b32 v6, v6, v[vgprValuC+22], s[54:55]    // 
v_cmp_class_f32 s[54:55], v[vgprValuC+23], v10     // check NaN and +/-INF
v_med3_f32 v7, v[vgprValuC+23], v8, v9             // Clipping f32 value if exceeds the limit
v_cndmask_b32 v7, v7, v[vgprValuC+23], s[54:55]    // 
v_cvt_pk_bf8_f32  v17, v6, v7 op_sel:[0,0,1]       // convert two f32 accumulated values to fp8 and save it to hi_16[16:31]
_buffer_store_b64 v[16:17], v11, s[sgprSrdD:sgprSrdD+3], 0, offen, offset:0,  sc0 sc1 // store D
v_cmp_class_f32 s[54:55], v[vgprValuC+24], v10     // check NaN and +/-INF
v_med3_f32 v6, v[vgprValuC+24], v8, v9             // Clipping f32 value if exceeds the limit
v_cndmask_b32 v6, v6, v[vgprValuC+24], s[54:55]    // 
v_cmp_class_f32 s[54:55], v[vgprValuC+25], v10     // check NaN and +/-INF
v_med3_f32 v7, v[vgprValuC+25], v8, v9             // Clipping f32 value if exceeds the limit
v_cndmask_b32 v7, v7, v[vgprValuC+25], s[54:55]    // 
v_cvt_pk_bf8_f32  v24, v6, v7 op_sel:[0,0,0]       // convert two f32 accumulated values to fp8 and save it to lo_16[0:15]
v_cmp_class_f32 s[54:55], v[vgprValuC+26], v10     // check NaN and +/-INF
v_med3_f32 v6, v[vgprValuC+26], v8, v9             // Clipping f32 value if exceeds the limit
v_cndmask_b32 v6, v6, v[vgprValuC+26], s[54:55]    // 
v_cmp_class_f32 s[54:55], v[vgprValuC+27], v10     // check NaN and +/-INF
v_med3_f32 v7, v[vgprValuC+27], v8, v9             // Clipping f32 value if exceeds the limit
v_cndmask_b32 v7, v7, v[vgprValuC+27], s[54:55]    // 
v_cvt_pk_bf8_f32  v24, v6, v7 op_sel:[0,0,1]       // convert two f32 accumulated values to fp8 and save it to hi_16[16:31]
v_cmp_class_f32 s[54:55], v[vgprValuC+28], v10     // check NaN and +/-INF
v_med3_f32 v6, v[vgprValuC+28], v8, v9             // Clipping f32 value if exceeds the limit
v_cndmask_b32 v6, v6, v[vgprValuC+28], s[54:55]    // 
v_cmp_class_f32 s[54:55], v[vgprValuC+29], v10     // check NaN and +/-INF
v_med3_f32 v7, v[vgprValuC+29], v8, v9             // Clipping f32 value if exceeds the limit
v_cndmask_b32 v7, v7, v[vgprValuC+29], s[54:55]    // 
v_cvt_pk_bf8_f32  v25, v6, v7 op_sel:[0,0,0]       // convert two f32 accumulated values to fp8 and save it to lo_16[0:15]
v_cmp_class_f32 s[54:55], v[vgprValuC+30], v10     // check NaN and +/-INF
v_med3_f32 v6, v[vgprValuC+30], v8, v9             // Clipping f32 value if exceeds the limit
v_cndmask_b32 v6, v6, v[vgprValuC+30], s[54:55]    // 
v_cmp_class_f32 s[54:55], v[vgprValuC+31], v10     // check NaN and +/-INF
v_med3_f32 v7, v[vgprValuC+31], v8, v9             // Clipping f32 value if exceeds the limit
v_cndmask_b32 v7, v7, v[vgprValuC+31], s[54:55]    // 
v_cvt_pk_bf8_f32  v25, v6, v7 op_sel:[0,0,1]       // convert two f32 accumulated values to fp8 and save it to hi_16[16:31]
_buffer_store_b64 v[24:25], v12, s[sgprSrdD:sgprSrdD+3], 0, offen, offset:0,  sc0 sc1 // store D
	;; [unrolled: 29-line block ×9, first 2 shown]
v_cmp_class_f32 s[54:55], v[vgprValuC+96], v10     // check NaN and +/-INF
v_med3_f32 v6, v[vgprValuC+96], v8, v9             // Clipping f32 value if exceeds the limit
v_cndmask_b32 v6, v6, v[vgprValuC+96], s[54:55]    // 
v_cmp_class_f32 s[54:55], v[vgprValuC+97], v10     // check NaN and +/-INF
v_med3_f32 v7, v[vgprValuC+97], v8, v9             // Clipping f32 value if exceeds the limit
v_cndmask_b32 v7, v7, v[vgprValuC+97], s[54:55]    // 
v_cvt_pk_bf8_f32  v96, v6, v7 op_sel:[0,0,0]       // convert two f32 accumulated values to fp8 and save it to lo_16[0:15]
v_cmp_class_f32 s[54:55], v[vgprValuC+98], v10     // check NaN and +/-INF
v_med3_f32 v6, v[vgprValuC+98], v8, v9             // Clipping f32 value if exceeds the limit
v_cndmask_b32 v6, v6, v[vgprValuC+98], s[54:55]    // 
v_cmp_class_f32 s[54:55], v[vgprValuC+99], v10     // check NaN and +/-INF
v_med3_f32 v7, v[vgprValuC+99], v8, v9             // Clipping f32 value if exceeds the limit
v_cndmask_b32 v7, v7, v[vgprValuC+99], s[54:55]    // 
v_cvt_pk_bf8_f32  v96, v6, v7 op_sel:[0,0,1]       // convert two f32 accumulated values to fp8 and save it to hi_16[16:31]
v_cmp_class_f32 s[54:55], v[vgprValuC+100], v10    // check NaN and +/-INF
v_med3_f32 v6, v[vgprValuC+100], v8, v9            // Clipping f32 value if exceeds the limit
v_cndmask_b32 v6, v6, v[vgprValuC+100], s[54:55]   // 
v_cmp_class_f32 s[54:55], v[vgprValuC+101], v10    // check NaN and +/-INF
v_med3_f32 v7, v[vgprValuC+101], v8, v9            // Clipping f32 value if exceeds the limit
v_cndmask_b32 v7, v7, v[vgprValuC+101], s[54:55]   // 
v_cvt_pk_bf8_f32  v97, v6, v7 op_sel:[0,0,0]       // convert two f32 accumulated values to fp8 and save it to lo_16[0:15]
v_cmp_class_f32 s[54:55], v[vgprValuC+102], v10    // check NaN and +/-INF
v_med3_f32 v6, v[vgprValuC+102], v8, v9            // Clipping f32 value if exceeds the limit
v_cndmask_b32 v6, v6, v[vgprValuC+102], s[54:55]   // 
v_cmp_class_f32 s[54:55], v[vgprValuC+103], v10    // check NaN and +/-INF
v_med3_f32 v7, v[vgprValuC+103], v8, v9            // Clipping f32 value if exceeds the limit
v_cndmask_b32 v7, v7, v[vgprValuC+103], s[54:55]   // 
v_cvt_pk_bf8_f32  v97, v6, v7 op_sel:[0,0,1]       // convert two f32 accumulated values to fp8 and save it to hi_16[16:31]
_buffer_store_b64 v[96:97], v60, s[sgprSrdD:sgprSrdD+3], 0, offen, offset:0,  sc0 sc1 // store D
v_cmp_class_f32 s[54:55], v[vgprValuC+104], v10    // check NaN and +/-INF
v_med3_f32 v6, v[vgprValuC+104], v8, v9            // Clipping f32 value if exceeds the limit
v_cndmask_b32 v6, v6, v[vgprValuC+104], s[54:55]   // 
v_cmp_class_f32 s[54:55], v[vgprValuC+105], v10    // check NaN and +/-INF
v_med3_f32 v7, v[vgprValuC+105], v8, v9            // Clipping f32 value if exceeds the limit
v_cndmask_b32 v7, v7, v[vgprValuC+105], s[54:55]   // 
v_cvt_pk_bf8_f32  v104, v6, v7 op_sel:[0,0,0]      // convert two f32 accumulated values to fp8 and save it to lo_16[0:15]
v_cmp_class_f32 s[54:55], v[vgprValuC+106], v10    // check NaN and +/-INF
v_med3_f32 v6, v[vgprValuC+106], v8, v9            // Clipping f32 value if exceeds the limit
v_cndmask_b32 v6, v6, v[vgprValuC+106], s[54:55]   // 
v_cmp_class_f32 s[54:55], v[vgprValuC+107], v10    // check NaN and +/-INF
v_med3_f32 v7, v[vgprValuC+107], v8, v9            // Clipping f32 value if exceeds the limit
v_cndmask_b32 v7, v7, v[vgprValuC+107], s[54:55]   // 
v_cvt_pk_bf8_f32  v104, v6, v7 op_sel:[0,0,1]      // convert two f32 accumulated values to fp8 and save it to hi_16[16:31]
v_cmp_class_f32 s[54:55], v[vgprValuC+108], v10    // check NaN and +/-INF
v_med3_f32 v6, v[vgprValuC+108], v8, v9            // Clipping f32 value if exceeds the limit
v_cndmask_b32 v6, v6, v[vgprValuC+108], s[54:55]   // 
v_cmp_class_f32 s[54:55], v[vgprValuC+109], v10    // check NaN and +/-INF
v_med3_f32 v7, v[vgprValuC+109], v8, v9            // Clipping f32 value if exceeds the limit
v_cndmask_b32 v7, v7, v[vgprValuC+109], s[54:55]   // 
v_cvt_pk_bf8_f32  v105, v6, v7 op_sel:[0,0,0]      // convert two f32 accumulated values to fp8 and save it to lo_16[0:15]
v_cmp_class_f32 s[54:55], v[vgprValuC+110], v10    // check NaN and +/-INF
v_med3_f32 v6, v[vgprValuC+110], v8, v9            // Clipping f32 value if exceeds the limit
v_cndmask_b32 v6, v6, v[vgprValuC+110], s[54:55]   // 
v_cmp_class_f32 s[54:55], v[vgprValuC+111], v10    // check NaN and +/-INF
v_med3_f32 v7, v[vgprValuC+111], v8, v9            // Clipping f32 value if exceeds the limit
v_cndmask_b32 v7, v7, v[vgprValuC+111], s[54:55]   // 
v_cvt_pk_bf8_f32  v105, v6, v7 op_sel:[0,0,1]      // convert two f32 accumulated values to fp8 and save it to hi_16[16:31]
_buffer_store_b64 v[104:105], v61, s[sgprSrdD:sgprSrdD+3], 0, offen, offset:0,  sc0 sc1 // store D
v_cmp_class_f32 s[54:55], v[vgprValuC+112], v10    // check NaN and +/-INF
v_med3_f32 v6, v[vgprValuC+112], v8, v9            // Clipping f32 value if exceeds the limit
v_cndmask_b32 v6, v6, v[vgprValuC+112], s[54:55]   // 
v_cmp_class_f32 s[54:55], v[vgprValuC+113], v10    // check NaN and +/-INF
v_med3_f32 v7, v[vgprValuC+113], v8, v9            // Clipping f32 value if exceeds the limit
v_cndmask_b32 v7, v7, v[vgprValuC+113], s[54:55]   // 
v_cvt_pk_bf8_f32  v112, v6, v7 op_sel:[0,0,0]      // convert two f32 accumulated values to fp8 and save it to lo_16[0:15]
v_cmp_class_f32 s[54:55], v[vgprValuC+114], v10    // check NaN and +/-INF
v_med3_f32 v6, v[vgprValuC+114], v8, v9            // Clipping f32 value if exceeds the limit
v_cndmask_b32 v6, v6, v[vgprValuC+114], s[54:55]   // 
v_cmp_class_f32 s[54:55], v[vgprValuC+115], v10    // check NaN and +/-INF
v_med3_f32 v7, v[vgprValuC+115], v8, v9            // Clipping f32 value if exceeds the limit
v_cndmask_b32 v7, v7, v[vgprValuC+115], s[54:55]   // 
v_cvt_pk_bf8_f32  v112, v6, v7 op_sel:[0,0,1]      // convert two f32 accumulated values to fp8 and save it to hi_16[16:31]
v_cmp_class_f32 s[54:55], v[vgprValuC+116], v10    // check NaN and +/-INF
v_med3_f32 v6, v[vgprValuC+116], v8, v9            // Clipping f32 value if exceeds the limit
v_cndmask_b32 v6, v6, v[vgprValuC+116], s[54:55]   // 
v_cmp_class_f32 s[54:55], v[vgprValuC+117], v10    // check NaN and +/-INF
v_med3_f32 v7, v[vgprValuC+117], v8, v9            // Clipping f32 value if exceeds the limit
v_cndmask_b32 v7, v7, v[vgprValuC+117], s[54:55]   // 
v_cvt_pk_bf8_f32  v113, v6, v7 op_sel:[0,0,0]      // convert two f32 accumulated values to fp8 and save it to lo_16[0:15]
v_cmp_class_f32 s[54:55], v[vgprValuC+118], v10    // check NaN and +/-INF
v_med3_f32 v6, v[vgprValuC+118], v8, v9            // Clipping f32 value if exceeds the limit
v_cndmask_b32 v6, v6, v[vgprValuC+118], s[54:55]   // 
v_cmp_class_f32 s[54:55], v[vgprValuC+119], v10    // check NaN and +/-INF
v_med3_f32 v7, v[vgprValuC+119], v8, v9            // Clipping f32 value if exceeds the limit
v_cndmask_b32 v7, v7, v[vgprValuC+119], s[54:55]   // 
v_cvt_pk_bf8_f32  v113, v6, v7 op_sel:[0,0,1]      // convert two f32 accumulated values to fp8 and save it to hi_16[16:31]
	;; [unrolled: 29-line block ×15, first 2 shown]
_buffer_store_b64 v[232:233], v203, s[sgprSrdD:sgprSrdD+3], 0, offen, offset:0,  sc0 sc1 // store D
s_nop 0                                            // 1 wait state required when next inst writes vgprs held by previous dwordx4 store inst
/* optSingleColVgpr=0 optSharedColVgpr=0 optSGPRUsage=BufferLoad_Edge_Mask optSrdIncForRow=0 */

/******************************************/
/* Global Write Alpha Edge Batch #1 (d1,d0,vc1,vc0) = */
/*    (6,0,1,0:vw8); (6,0,2,0:vw8); (6,0,3,0:vw8) */
/******************************************/

/* calc coords, apply mask, and issue loads (if necessary) */
/* (d1,vc1,d0,vc0)=(6,1,0,0) */
_v_add_co_u32 v1, vcc, v1, 1                       // coord1.1: coord1Vgpr += d1*sg1*VW + vc1

/* Fix for UseInitialStridesCD, emitAddressSetupCode */
_v_add_u32 v2, v2, s[sgprStrideC1J]                // ROWINC- Move cinRowPtr to next row
_v_add_u32 v3, v3, s[sgprStrideD1J]                // Move coutRowPtr to next row
v_cmp_lt_u32 s[54:55], v0, s[sgprSizeI]            // coord0 < size0
v_cmp_lt_u32 s[58:59], v1, s[sgprSizeJ]            // coord1 < size1
s_and_b64 s[58:59], s[54:55], s[58:59]             // in0 && in1
_v_add_lshl_u32 v11, v3, v0, 0x0                   // scaleToBpe: accumulate d0 lower and *= bpe into Cin addr
v_cndmask_b32 v11, -1, v11, s[58:59]               // LDD clip if OOB. offset
/* (d1,vc1,d0,vc0)=(6,2,0,0) */
_v_add_co_u32 v1, vcc, v1, 1                       // coord1.1: coord1Vgpr += d1*sg1*VW + vc1

/* Fix for UseInitialStridesCD, emitAddressSetupCode */
_v_add_u32 v2, v2, s[sgprStrideC1J]                // ROWINC- Move cinRowPtr to next row
_v_add_u32 v3, v3, s[sgprStrideD1J]                // Move coutRowPtr to next row
v_cmp_lt_u32 s[54:55], v0, s[sgprSizeI]            // coord0 < size0
v_cmp_lt_u32 s[58:59], v1, s[sgprSizeJ]            // coord1 < size1
s_and_b64 s[58:59], s[54:55], s[58:59]             // in0 && in1
_v_add_lshl_u32 v12, v3, v0, 0x0                   // scaleToBpe: accumulate d0 lower and *= bpe into Cin addr
v_cndmask_b32 v12, -1, v12, s[58:59]               // LDD clip if OOB. offset
	;; [unrolled: 11-line block ×3, first 2 shown]
v_accvgpr_read_b32 v[vgprValuC+16], acc193 // copy acc to vreg[200]
v_accvgpr_read_b32 v[vgprValuC+17], acc197 // copy acc to vreg[201]
v_accvgpr_read_b32 v[vgprValuC+18], acc201 // copy acc to vreg[202]
v_accvgpr_read_b32 v[vgprValuC+19], acc205 // copy acc to vreg[203]
v_accvgpr_read_b32 v[vgprValuC+20], acc209 // copy acc to vreg[204]
v_accvgpr_read_b32 v[vgprValuC+21], acc213 // copy acc to vreg[205]
v_accvgpr_read_b32 v[vgprValuC+22], acc217 // copy acc to vreg[206]
v_accvgpr_read_b32 v[vgprValuC+23], acc221 // copy acc to vreg[207]
v_accvgpr_read_b32 v[vgprValuC+24], acc194 // copy acc to vreg[208]
v_accvgpr_read_b32 v[vgprValuC+25], acc198 // copy acc to vreg[209]
v_accvgpr_read_b32 v[vgprValuC+26], acc202 // copy acc to vreg[210]
v_accvgpr_read_b32 v[vgprValuC+27], acc206 // copy acc to vreg[211]
v_accvgpr_read_b32 v[vgprValuC+28], acc210 // copy acc to vreg[212]
v_accvgpr_read_b32 v[vgprValuC+29], acc214 // copy acc to vreg[213]
v_accvgpr_read_b32 v[vgprValuC+30], acc218 // copy acc to vreg[214]
v_accvgpr_read_b32 v[vgprValuC+31], acc222 // copy acc to vreg[215]
v_accvgpr_read_b32 v[vgprValuC+32], acc195 // copy acc to vreg[216]
v_accvgpr_read_b32 v[vgprValuC+33], acc199 // copy acc to vreg[217]
v_accvgpr_read_b32 v[vgprValuC+34], acc203 // copy acc to vreg[218]
v_accvgpr_read_b32 v[vgprValuC+35], acc207 // copy acc to vreg[219]
v_accvgpr_read_b32 v[vgprValuC+36], acc211 // copy acc to vreg[220]
v_accvgpr_read_b32 v[vgprValuC+37], acc215 // copy acc to vreg[221]
v_accvgpr_read_b32 v[vgprValuC+38], acc219 // copy acc to vreg[222]
v_accvgpr_read_b32 v[vgprValuC+39], acc223 // copy acc to vreg[223]
s_nop 1                                            // 2 wait states required before reading vgpr

/* rC *= alpha batchElements=[(6, 0, 1, 0), (6, 0, 2, 0), (6, 0, 3, 0)] */
v_mul_f32 v[vgprValuC+16], s[sgprAlpha], v[vgprValuC+16] // *= alpha
v_mul_f32 v[vgprValuC+17], s[sgprAlpha], v[vgprValuC+17] // *= alpha
v_mul_f32 v[vgprValuC+18], s[sgprAlpha], v[vgprValuC+18] // *= alpha
v_mul_f32 v[vgprValuC+19], s[sgprAlpha], v[vgprValuC+19] // *= alpha
v_mul_f32 v[vgprValuC+20], s[sgprAlpha], v[vgprValuC+20] // *= alpha
v_mul_f32 v[vgprValuC+21], s[sgprAlpha], v[vgprValuC+21] // *= alpha
v_mul_f32 v[vgprValuC+22], s[sgprAlpha], v[vgprValuC+22] // *= alpha
v_mul_f32 v[vgprValuC+23], s[sgprAlpha], v[vgprValuC+23] // *= alpha
v_mul_f32 v[vgprValuC+24], s[sgprAlpha], v[vgprValuC+24] // *= alpha
v_mul_f32 v[vgprValuC+25], s[sgprAlpha], v[vgprValuC+25] // *= alpha
v_mul_f32 v[vgprValuC+26], s[sgprAlpha], v[vgprValuC+26] // *= alpha
v_mul_f32 v[vgprValuC+27], s[sgprAlpha], v[vgprValuC+27] // *= alpha
v_mul_f32 v[vgprValuC+28], s[sgprAlpha], v[vgprValuC+28] // *= alpha
v_mul_f32 v[vgprValuC+29], s[sgprAlpha], v[vgprValuC+29] // *= alpha
v_mul_f32 v[vgprValuC+30], s[sgprAlpha], v[vgprValuC+30] // *= alpha
v_mul_f32 v[vgprValuC+31], s[sgprAlpha], v[vgprValuC+31] // *= alpha
v_mul_f32 v[vgprValuC+32], s[sgprAlpha], v[vgprValuC+32] // *= alpha
v_mul_f32 v[vgprValuC+33], s[sgprAlpha], v[vgprValuC+33] // *= alpha
v_mul_f32 v[vgprValuC+34], s[sgprAlpha], v[vgprValuC+34] // *= alpha
v_mul_f32 v[vgprValuC+35], s[sgprAlpha], v[vgprValuC+35] // *= alpha
v_mul_f32 v[vgprValuC+36], s[sgprAlpha], v[vgprValuC+36] // *= alpha
v_mul_f32 v[vgprValuC+37], s[sgprAlpha], v[vgprValuC+37] // *= alpha
v_mul_f32 v[vgprValuC+38], s[sgprAlpha], v[vgprValuC+38] // *= alpha
v_mul_f32 v[vgprValuC+39], s[sgprAlpha], v[vgprValuC+39] // *= alpha

/* apply mask, calc new C and issue writes */
v_mov_b32 v10, 0x207                               // flag for Nan and +/- inf
v_mov_b32 v8, 0x47600000                           // save 57344.0f as max for clipping
v_mov_b32 v9, 0xC7600000                           // save -57344`.0f as min for clipping
v_cmp_class_f32 s[54:55], v[vgprValuC+16], v10     // check NaN and +/-INF
v_med3_f32 v6, v[vgprValuC+16], v8, v9             // Clipping f32 value if exceeds the limit
v_cndmask_b32 v6, v6, v[vgprValuC+16], s[54:55]    // 
v_cmp_class_f32 s[54:55], v[vgprValuC+17], v10     // check NaN and +/-INF
v_med3_f32 v7, v[vgprValuC+17], v8, v9             // Clipping f32 value if exceeds the limit
v_cndmask_b32 v7, v7, v[vgprValuC+17], s[54:55]    // 
v_cvt_pk_bf8_f32  v16, v6, v7 op_sel:[0,0,0]       // convert two f32 accumulated values to fp8 and save it to lo_16[0:15]
v_cmp_class_f32 s[54:55], v[vgprValuC+18], v10     // check NaN and +/-INF
v_med3_f32 v6, v[vgprValuC+18], v8, v9             // Clipping f32 value if exceeds the limit
v_cndmask_b32 v6, v6, v[vgprValuC+18], s[54:55]    // 
v_cmp_class_f32 s[54:55], v[vgprValuC+19], v10     // check NaN and +/-INF
v_med3_f32 v7, v[vgprValuC+19], v8, v9             // Clipping f32 value if exceeds the limit
v_cndmask_b32 v7, v7, v[vgprValuC+19], s[54:55]    // 
v_cvt_pk_bf8_f32  v16, v6, v7 op_sel:[0,0,1]       // convert two f32 accumulated values to fp8 and save it to hi_16[16:31]
v_cmp_class_f32 s[54:55], v[vgprValuC+20], v10     // check NaN and +/-INF
v_med3_f32 v6, v[vgprValuC+20], v8, v9             // Clipping f32 value if exceeds the limit
v_cndmask_b32 v6, v6, v[vgprValuC+20], s[54:55]    // 
v_cmp_class_f32 s[54:55], v[vgprValuC+21], v10     // check NaN and +/-INF
v_med3_f32 v7, v[vgprValuC+21], v8, v9             // Clipping f32 value if exceeds the limit
v_cndmask_b32 v7, v7, v[vgprValuC+21], s[54:55]    // 
v_cvt_pk_bf8_f32  v17, v6, v7 op_sel:[0,0,0]       // convert two f32 accumulated values to fp8 and save it to lo_16[0:15]
v_cmp_class_f32 s[54:55], v[vgprValuC+22], v10     // check NaN and +/-INF
v_med3_f32 v6, v[vgprValuC+22], v8, v9             // Clipping f32 value if exceeds the limit
v_cndmask_b32 v6, v6, v[vgprValuC+22], s[54:55]    // 
v_cmp_class_f32 s[54:55], v[vgprValuC+23], v10     // check NaN and +/-INF
v_med3_f32 v7, v[vgprValuC+23], v8, v9             // Clipping f32 value if exceeds the limit
v_cndmask_b32 v7, v7, v[vgprValuC+23], s[54:55]    // 
v_cvt_pk_bf8_f32  v17, v6, v7 op_sel:[0,0,1]       // convert two f32 accumulated values to fp8 and save it to hi_16[16:31]
_buffer_store_b64 v[16:17], v11, s[sgprSrdD:sgprSrdD+3], 0, offen, offset:0,  sc0 sc1 // store D
v_cmp_class_f32 s[54:55], v[vgprValuC+24], v10     // check NaN and +/-INF
v_med3_f32 v6, v[vgprValuC+24], v8, v9             // Clipping f32 value if exceeds the limit
v_cndmask_b32 v6, v6, v[vgprValuC+24], s[54:55]    // 
v_cmp_class_f32 s[54:55], v[vgprValuC+25], v10     // check NaN and +/-INF
v_med3_f32 v7, v[vgprValuC+25], v8, v9             // Clipping f32 value if exceeds the limit
v_cndmask_b32 v7, v7, v[vgprValuC+25], s[54:55]    // 
v_cvt_pk_bf8_f32  v24, v6, v7 op_sel:[0,0,0]       // convert two f32 accumulated values to fp8 and save it to lo_16[0:15]
v_cmp_class_f32 s[54:55], v[vgprValuC+26], v10     // check NaN and +/-INF
v_med3_f32 v6, v[vgprValuC+26], v8, v9             // Clipping f32 value if exceeds the limit
v_cndmask_b32 v6, v6, v[vgprValuC+26], s[54:55]    // 
v_cmp_class_f32 s[54:55], v[vgprValuC+27], v10     // check NaN and +/-INF
v_med3_f32 v7, v[vgprValuC+27], v8, v9             // Clipping f32 value if exceeds the limit
v_cndmask_b32 v7, v7, v[vgprValuC+27], s[54:55]    // 
v_cvt_pk_bf8_f32  v24, v6, v7 op_sel:[0,0,1]       // convert two f32 accumulated values to fp8 and save it to hi_16[16:31]
v_cmp_class_f32 s[54:55], v[vgprValuC+28], v10     // check NaN and +/-INF
v_med3_f32 v6, v[vgprValuC+28], v8, v9             // Clipping f32 value if exceeds the limit
v_cndmask_b32 v6, v6, v[vgprValuC+28], s[54:55]    // 
v_cmp_class_f32 s[54:55], v[vgprValuC+29], v10     // check NaN and +/-INF
v_med3_f32 v7, v[vgprValuC+29], v8, v9             // Clipping f32 value if exceeds the limit
v_cndmask_b32 v7, v7, v[vgprValuC+29], s[54:55]    // 
v_cvt_pk_bf8_f32  v25, v6, v7 op_sel:[0,0,0]       // convert two f32 accumulated values to fp8 and save it to lo_16[0:15]
v_cmp_class_f32 s[54:55], v[vgprValuC+30], v10     // check NaN and +/-INF
v_med3_f32 v6, v[vgprValuC+30], v8, v9             // Clipping f32 value if exceeds the limit
v_cndmask_b32 v6, v6, v[vgprValuC+30], s[54:55]    // 
v_cmp_class_f32 s[54:55], v[vgprValuC+31], v10     // check NaN and +/-INF
v_med3_f32 v7, v[vgprValuC+31], v8, v9             // Clipping f32 value if exceeds the limit
v_cndmask_b32 v7, v7, v[vgprValuC+31], s[54:55]    // 
v_cvt_pk_bf8_f32  v25, v6, v7 op_sel:[0,0,1]       // convert two f32 accumulated values to fp8 and save it to hi_16[16:31]
_buffer_store_b64 v[24:25], v12, s[sgprSrdD:sgprSrdD+3], 0, offen, offset:0,  sc0 sc1 // store D
	;; [unrolled: 29-line block ×3, first 2 shown]
s_nop 0                                            // 1 wait state required when next inst writes vgprs held by previous dwordx4 store inst
s_branch label_GW_End_42                           // jump to end
GW_Beta_43:
s_and_b32 s54, 255, s[sgprSizeI]                   // s54 = s[sgprSizeI] % 256
s_add_u32 s55, -0x1, s[sgprNumWorkGroups0]         // 
s_cmp_ge_u32 s[sgprWorkGroup0], s55                // wg0 >= nwg0-1 ?
s_cselect_b32 s54, s54, 0                          // set rMT0
s_cmpk_gt_u32 s54, 0x0                             // rMT0 > 0
s_cbranch_scc1 GW_B1_E1_41                         // jump if edges required
s_mov_b32 s57, 0x0                                 // STATIC_DIV: divisior=224
s_mul_i32 s56, 0x249, s[sgprSizeJ]                 // tmp1 = dividend * magic hi
s_lshl_b64 s[56:57], s[56:57], 0x10                // left shift 16 bits
s_mul_i32 s55, s[sgprSizeJ], 0x2493                // tmp0 = dividend * magic lo
s_add_u32 s56, s55, s56                            // add lo
s_addc_u32 s57, s57, 0x0                           // add hi
s_lshr_b64 s[56:57], s[56:57], 0x21                // tmp1 = (dividend * magic) << shift
s_mov_b32 s55, s56                                 // quotient
s_mul_i32 s56, s55, 0xe0                           // quotient*divisor
s_sub_u32 s54, s[sgprSizeJ], s56                   // rReg = dividend - quotient*divisor
s_add_u32 s55, -0x1, s[sgprNumWorkGroups1]         // 
s_cmp_ge_u32 s[sgprWorkGroup1], s55                // wg1 >= nwg1-1
s_cselect_b32 s54, s54, 0                          // set rMT1
s_cmpk_gt_u32 s54, 0x0                             // rMT1 > 0
s_cbranch_scc1 GW_B1_E1_41                         // jump if edges required
GW_B1_E0_38:

/* edge=0, allocate 2 sgpr. perBatchTmpS=2 perBatchMaskS=0 perElementMaskS=0 elementsPerBatch=22 */
/* optSingleColVgpr=1 optSharedColVgpr=0 optSGPRUsage=BufferLoad_Mask optSrdIncForRow=1 */

/******************************************/
/* Global Write Alpha Beta Batch #0 (d1,d0,vc1,vc0) = */
/*    (0,0,0,0:vw8); (0,0,1,0:vw8); (0,0,2,0:vw8); (0,0,3,0:vw8); (1,0,0,0:vw8); (1,0,1,0:vw8); (1,0,2,0:vw8); (1,0,3,0:vw8); (2,0,0,0:vw8); (2,0,1,0:vw8); (2,0,2,0:vw8); (2,0,3,0:vw8); (3,0,0,0:vw8); (3,0,1,0:vw8); (3,0,2,0:vw8); (3,0,3,0:vw8); (4,0,0,0:vw8); (4,0,1,0:vw8); (4,0,2,0:vw8); (4,0,3,0:vw8); (5,0,0,0:vw8); (5,0,1,0:vw8) */
/******************************************/

/* calc coords, apply mask, and issue loads (if necessary) */
/* (d1,vc1,d0,vc0)=(0,0,0,0) */
_v_add_lshl_u32 v12, v2, v0, 0x0                   // optSingleColVgpr scaleToBpe: sharedAddrVgpr <- cinRowPtr + coord0, scaled by BPE. BSHERE:coord0=0, coord0Vgpr=0
_buffer_load_b64 v[14:15], v12, s[sgprSrdC:sgprSrdC+3], 0, offen offset:0,  sc0 sc1 // load C for beta calc
/* (d1,vc1,d0,vc0)=(0,1,0,0) */
s_lshl_b32  s54, s[sgprStrideC1J], 0               // incToNextRow: Scale by BPE
s_add_u32  s[sgprSrdC+0], s[sgprSrdC+0], s54       // incToNextRow: gra SRD += inc(lower)
s_addc_u32  s[sgprSrdC+1], s[sgprSrdC+1], 0        // incToNextRow: gra SRD += inc(upper)
_buffer_load_b64 v[24:25], v12, s[sgprSrdC:sgprSrdC+3], 0, offen offset:0,  sc0 sc1 // load C for beta calc
/* (d1,vc1,d0,vc0)=(0,2,0,0) */
s_lshl_b32  s54, s[sgprStrideC1J], 0               // incToNextRow: Scale by BPE
s_add_u32  s[sgprSrdC+0], s[sgprSrdC+0], s54       // incToNextRow: gra SRD += inc(lower)
s_addc_u32  s[sgprSrdC+1], s[sgprSrdC+1], 0        // incToNextRow: gra SRD += inc(upper)
_buffer_load_b64 v[26:27], v12, s[sgprSrdC:sgprSrdC+3], 0, offen offset:0,  sc0 sc1 // load C for beta calc
/* (d1,vc1,d0,vc0)=(0,3,0,0) */
s_lshl_b32  s54, s[sgprStrideC1J], 0               // incToNextRow: Scale by BPE
s_add_u32  s[sgprSrdC+0], s[sgprSrdC+0], s54       // incToNextRow: gra SRD += inc(lower)
s_addc_u32  s[sgprSrdC+1], s[sgprSrdC+1], 0        // incToNextRow: gra SRD += inc(upper)
_buffer_load_b64 v[28:29], v12, s[sgprSrdC:sgprSrdC+3], 0, offen offset:0,  sc0 sc1 // load C for beta calc
/* (d1,vc1,d0,vc0)=(1,0,0,0) */
s_mul_i32 s54, s[sgprStrideC1J], 29                // scale StrideC *= numRows(29) * bpe
s_add_u32  s[sgprSrdC+0], s[sgprSrdC+0], s54       // incToNextRow: gra SRD += inc(lower)
s_addc_u32  s[sgprSrdC+1], s[sgprSrdC+1], 0        // incToNextRow: gra SRD += inc(upper)
_buffer_load_b64 v[30:31], v12, s[sgprSrdC:sgprSrdC+3], 0, offen offset:0,  sc0 sc1 // load C for beta calc
/* (d1,vc1,d0,vc0)=(1,1,0,0) */
s_lshl_b32  s54, s[sgprStrideC1J], 0               // incToNextRow: Scale by BPE
s_add_u32  s[sgprSrdC+0], s[sgprSrdC+0], s54       // incToNextRow: gra SRD += inc(lower)
s_addc_u32  s[sgprSrdC+1], s[sgprSrdC+1], 0        // incToNextRow: gra SRD += inc(upper)
_buffer_load_b64 v[64:65], v12, s[sgprSrdC:sgprSrdC+3], 0, offen offset:0,  sc0 sc1 // load C for beta calc
/* (d1,vc1,d0,vc0)=(1,2,0,0) */
s_lshl_b32  s54, s[sgprStrideC1J], 0               // incToNextRow: Scale by BPE
s_add_u32  s[sgprSrdC+0], s[sgprSrdC+0], s54       // incToNextRow: gra SRD += inc(lower)
s_addc_u32  s[sgprSrdC+1], s[sgprSrdC+1], 0        // incToNextRow: gra SRD += inc(upper)
_buffer_load_b64 v[66:67], v12, s[sgprSrdC:sgprSrdC+3], 0, offen offset:0,  sc0 sc1 // load C for beta calc
/* (d1,vc1,d0,vc0)=(1,3,0,0) */
s_lshl_b32  s54, s[sgprStrideC1J], 0               // incToNextRow: Scale by BPE
s_add_u32  s[sgprSrdC+0], s[sgprSrdC+0], s54       // incToNextRow: gra SRD += inc(lower)
s_addc_u32  s[sgprSrdC+1], s[sgprSrdC+1], 0        // incToNextRow: gra SRD += inc(upper)
_buffer_load_b64 v[68:69], v12, s[sgprSrdC:sgprSrdC+3], 0, offen offset:0,  sc0 sc1 // load C for beta calc
/* (d1,vc1,d0,vc0)=(2,0,0,0) */
s_mul_i32 s54, s[sgprStrideC1J], 29                // scale StrideC *= numRows(29) * bpe
s_add_u32  s[sgprSrdC+0], s[sgprSrdC+0], s54       // incToNextRow: gra SRD += inc(lower)
s_addc_u32  s[sgprSrdC+1], s[sgprSrdC+1], 0        // incToNextRow: gra SRD += inc(upper)
	;; [unrolled: 20-line block ×5, first 2 shown]
_buffer_load_b64 v[190:191], v12, s[sgprSrdC:sgprSrdC+3], 0, offen offset:0,  sc0 sc1 // load C for beta calc
/* (d1,vc1,d0,vc0)=(5,1,0,0) */
s_lshl_b32  s54, s[sgprStrideC1J], 0               // incToNextRow: Scale by BPE
s_add_u32  s[sgprSrdC+0], s[sgprSrdC+0], s54       // incToNextRow: gra SRD += inc(lower)
s_addc_u32  s[sgprSrdC+1], s[sgprSrdC+1], 0        // incToNextRow: gra SRD += inc(upper)
_buffer_load_b64 v[224:225], v12, s[sgprSrdC:sgprSrdC+3], 0, offen offset:0,  sc0 sc1 // load C for beta calc
_v_add_lshl_u32 v11, v3, v0, 0x0                   // optSingleColVgpr scaleToBpe: sharedAddrVgpr <- cinRowPtr + coord0, scaled by BPE. BSHERE:coord0=0, coord0Vgpr=0
v_accvgpr_read_b32 v[vgprValuC+16], acc0 // copy acc to vreg[0]
v_accvgpr_read_b32 v[vgprValuC+17], acc4 // copy acc to vreg[1]
v_accvgpr_read_b32 v[vgprValuC+18], acc8 // copy acc to vreg[2]
v_accvgpr_read_b32 v[vgprValuC+19], acc12 // copy acc to vreg[3]
v_accvgpr_read_b32 v[vgprValuC+20], acc16 // copy acc to vreg[4]
v_accvgpr_read_b32 v[vgprValuC+21], acc20 // copy acc to vreg[5]
v_accvgpr_read_b32 v[vgprValuC+22], acc24 // copy acc to vreg[6]
v_accvgpr_read_b32 v[vgprValuC+23], acc28 // copy acc to vreg[7]
v_accvgpr_read_b32 v[vgprValuC+32], acc1 // copy acc to vreg[8]
v_accvgpr_read_b32 v[vgprValuC+33], acc5 // copy acc to vreg[9]
v_accvgpr_read_b32 v[vgprValuC+34], acc9 // copy acc to vreg[10]
v_accvgpr_read_b32 v[vgprValuC+35], acc13 // copy acc to vreg[11]
v_accvgpr_read_b32 v[vgprValuC+36], acc17 // copy acc to vreg[12]
v_accvgpr_read_b32 v[vgprValuC+37], acc21 // copy acc to vreg[13]
v_accvgpr_read_b32 v[vgprValuC+38], acc25 // copy acc to vreg[14]
v_accvgpr_read_b32 v[vgprValuC+39], acc29 // copy acc to vreg[15]
v_accvgpr_read_b32 v[vgprValuC+40], acc2 // copy acc to vreg[16]
v_accvgpr_read_b32 v[vgprValuC+41], acc6 // copy acc to vreg[17]
v_accvgpr_read_b32 v[vgprValuC+42], acc10 // copy acc to vreg[18]
v_accvgpr_read_b32 v[vgprValuC+43], acc14 // copy acc to vreg[19]
v_accvgpr_read_b32 v[vgprValuC+44], acc18 // copy acc to vreg[20]
v_accvgpr_read_b32 v[vgprValuC+45], acc22 // copy acc to vreg[21]
v_accvgpr_read_b32 v[vgprValuC+46], acc26 // copy acc to vreg[22]
v_accvgpr_read_b32 v[vgprValuC+47], acc30 // copy acc to vreg[23]
v_accvgpr_read_b32 v[vgprValuC+48], acc3 // copy acc to vreg[24]
v_accvgpr_read_b32 v[vgprValuC+49], acc7 // copy acc to vreg[25]
v_accvgpr_read_b32 v[vgprValuC+50], acc11 // copy acc to vreg[26]
v_accvgpr_read_b32 v[vgprValuC+51], acc15 // copy acc to vreg[27]
v_accvgpr_read_b32 v[vgprValuC+52], acc19 // copy acc to vreg[28]
v_accvgpr_read_b32 v[vgprValuC+53], acc23 // copy acc to vreg[29]
v_accvgpr_read_b32 v[vgprValuC+54], acc27 // copy acc to vreg[30]
v_accvgpr_read_b32 v[vgprValuC+55], acc31 // copy acc to vreg[31]
v_accvgpr_read_b32 v[vgprValuC+56], acc32 // copy acc to vreg[32]
v_accvgpr_read_b32 v[vgprValuC+57], acc36 // copy acc to vreg[33]
v_accvgpr_read_b32 v[vgprValuC+58], acc40 // copy acc to vreg[34]
v_accvgpr_read_b32 v[vgprValuC+59], acc44 // copy acc to vreg[35]
v_accvgpr_read_b32 v[vgprValuC+60], acc48 // copy acc to vreg[36]
v_accvgpr_read_b32 v[vgprValuC+61], acc52 // copy acc to vreg[37]
v_accvgpr_read_b32 v[vgprValuC+62], acc56 // copy acc to vreg[38]
v_accvgpr_read_b32 v[vgprValuC+63], acc60 // copy acc to vreg[39]
v_accvgpr_read_b32 v[vgprValuC+72], acc33 // copy acc to vreg[40]
v_accvgpr_read_b32 v[vgprValuC+73], acc37 // copy acc to vreg[41]
v_accvgpr_read_b32 v[vgprValuC+74], acc41 // copy acc to vreg[42]
v_accvgpr_read_b32 v[vgprValuC+75], acc45 // copy acc to vreg[43]
v_accvgpr_read_b32 v[vgprValuC+76], acc49 // copy acc to vreg[44]
v_accvgpr_read_b32 v[vgprValuC+77], acc53 // copy acc to vreg[45]
v_accvgpr_read_b32 v[vgprValuC+78], acc57 // copy acc to vreg[46]
v_accvgpr_read_b32 v[vgprValuC+79], acc61 // copy acc to vreg[47]
v_accvgpr_read_b32 v[vgprValuC+80], acc34 // copy acc to vreg[48]
v_accvgpr_read_b32 v[vgprValuC+81], acc38 // copy acc to vreg[49]
v_accvgpr_read_b32 v[vgprValuC+82], acc42 // copy acc to vreg[50]
v_accvgpr_read_b32 v[vgprValuC+83], acc46 // copy acc to vreg[51]
v_accvgpr_read_b32 v[vgprValuC+84], acc50 // copy acc to vreg[52]
v_accvgpr_read_b32 v[vgprValuC+85], acc54 // copy acc to vreg[53]
v_accvgpr_read_b32 v[vgprValuC+86], acc58 // copy acc to vreg[54]
v_accvgpr_read_b32 v[vgprValuC+87], acc62 // copy acc to vreg[55]
v_accvgpr_read_b32 v[vgprValuC+88], acc35 // copy acc to vreg[56]
v_accvgpr_read_b32 v[vgprValuC+89], acc39 // copy acc to vreg[57]
v_accvgpr_read_b32 v[vgprValuC+90], acc43 // copy acc to vreg[58]
v_accvgpr_read_b32 v[vgprValuC+91], acc47 // copy acc to vreg[59]
v_accvgpr_read_b32 v[vgprValuC+92], acc51 // copy acc to vreg[60]
v_accvgpr_read_b32 v[vgprValuC+93], acc55 // copy acc to vreg[61]
v_accvgpr_read_b32 v[vgprValuC+94], acc59 // copy acc to vreg[62]
v_accvgpr_read_b32 v[vgprValuC+95], acc63 // copy acc to vreg[63]
v_accvgpr_read_b32 v[vgprValuC+96], acc64 // copy acc to vreg[64]
v_accvgpr_read_b32 v[vgprValuC+97], acc68 // copy acc to vreg[65]
v_accvgpr_read_b32 v[vgprValuC+98], acc72 // copy acc to vreg[66]
v_accvgpr_read_b32 v[vgprValuC+99], acc76 // copy acc to vreg[67]
v_accvgpr_read_b32 v[vgprValuC+100], acc80 // copy acc to vreg[68]
v_accvgpr_read_b32 v[vgprValuC+101], acc84 // copy acc to vreg[69]
v_accvgpr_read_b32 v[vgprValuC+102], acc88 // copy acc to vreg[70]
v_accvgpr_read_b32 v[vgprValuC+103], acc92 // copy acc to vreg[71]
v_accvgpr_read_b32 v[vgprValuC+112], acc65 // copy acc to vreg[72]
v_accvgpr_read_b32 v[vgprValuC+113], acc69 // copy acc to vreg[73]
v_accvgpr_read_b32 v[vgprValuC+114], acc73 // copy acc to vreg[74]
v_accvgpr_read_b32 v[vgprValuC+115], acc77 // copy acc to vreg[75]
v_accvgpr_read_b32 v[vgprValuC+116], acc81 // copy acc to vreg[76]
v_accvgpr_read_b32 v[vgprValuC+117], acc85 // copy acc to vreg[77]
v_accvgpr_read_b32 v[vgprValuC+118], acc89 // copy acc to vreg[78]
v_accvgpr_read_b32 v[vgprValuC+119], acc93 // copy acc to vreg[79]
v_accvgpr_read_b32 v[vgprValuC+120], acc66 // copy acc to vreg[80]
v_accvgpr_read_b32 v[vgprValuC+121], acc70 // copy acc to vreg[81]
v_accvgpr_read_b32 v[vgprValuC+122], acc74 // copy acc to vreg[82]
v_accvgpr_read_b32 v[vgprValuC+123], acc78 // copy acc to vreg[83]
v_accvgpr_read_b32 v[vgprValuC+124], acc82 // copy acc to vreg[84]
v_accvgpr_read_b32 v[vgprValuC+125], acc86 // copy acc to vreg[85]
v_accvgpr_read_b32 v[vgprValuC+126], acc90 // copy acc to vreg[86]
v_accvgpr_read_b32 v[vgprValuC+127], acc94 // copy acc to vreg[87]
v_accvgpr_read_b32 v[vgprValuC+128], acc67 // copy acc to vreg[88]
v_accvgpr_read_b32 v[vgprValuC+129], acc71 // copy acc to vreg[89]
v_accvgpr_read_b32 v[vgprValuC+130], acc75 // copy acc to vreg[90]
v_accvgpr_read_b32 v[vgprValuC+131], acc79 // copy acc to vreg[91]
v_accvgpr_read_b32 v[vgprValuC+132], acc83 // copy acc to vreg[92]
v_accvgpr_read_b32 v[vgprValuC+133], acc87 // copy acc to vreg[93]
v_accvgpr_read_b32 v[vgprValuC+134], acc91 // copy acc to vreg[94]
v_accvgpr_read_b32 v[vgprValuC+135], acc95 // copy acc to vreg[95]
v_accvgpr_read_b32 v[vgprValuC+136], acc96 // copy acc to vreg[96]
v_accvgpr_read_b32 v[vgprValuC+137], acc100 // copy acc to vreg[97]
v_accvgpr_read_b32 v[vgprValuC+138], acc104 // copy acc to vreg[98]
v_accvgpr_read_b32 v[vgprValuC+139], acc108 // copy acc to vreg[99]
v_accvgpr_read_b32 v[vgprValuC+140], acc112 // copy acc to vreg[100]
v_accvgpr_read_b32 v[vgprValuC+141], acc116 // copy acc to vreg[101]
v_accvgpr_read_b32 v[vgprValuC+142], acc120 // copy acc to vreg[102]
v_accvgpr_read_b32 v[vgprValuC+143], acc124 // copy acc to vreg[103]
v_accvgpr_read_b32 v[vgprValuC+152], acc97 // copy acc to vreg[104]
v_accvgpr_read_b32 v[vgprValuC+153], acc101 // copy acc to vreg[105]
v_accvgpr_read_b32 v[vgprValuC+154], acc105 // copy acc to vreg[106]
v_accvgpr_read_b32 v[vgprValuC+155], acc109 // copy acc to vreg[107]
v_accvgpr_read_b32 v[vgprValuC+156], acc113 // copy acc to vreg[108]
v_accvgpr_read_b32 v[vgprValuC+157], acc117 // copy acc to vreg[109]
v_accvgpr_read_b32 v[vgprValuC+158], acc121 // copy acc to vreg[110]
v_accvgpr_read_b32 v[vgprValuC+159], acc125 // copy acc to vreg[111]
v_accvgpr_read_b32 v[vgprValuC+160], acc98 // copy acc to vreg[112]
v_accvgpr_read_b32 v[vgprValuC+161], acc102 // copy acc to vreg[113]
v_accvgpr_read_b32 v[vgprValuC+162], acc106 // copy acc to vreg[114]
v_accvgpr_read_b32 v[vgprValuC+163], acc110 // copy acc to vreg[115]
v_accvgpr_read_b32 v[vgprValuC+164], acc114 // copy acc to vreg[116]
v_accvgpr_read_b32 v[vgprValuC+165], acc118 // copy acc to vreg[117]
v_accvgpr_read_b32 v[vgprValuC+166], acc122 // copy acc to vreg[118]
v_accvgpr_read_b32 v[vgprValuC+167], acc126 // copy acc to vreg[119]
v_accvgpr_read_b32 v[vgprValuC+168], acc99 // copy acc to vreg[120]
v_accvgpr_read_b32 v[vgprValuC+169], acc103 // copy acc to vreg[121]
v_accvgpr_read_b32 v[vgprValuC+170], acc107 // copy acc to vreg[122]
v_accvgpr_read_b32 v[vgprValuC+171], acc111 // copy acc to vreg[123]
v_accvgpr_read_b32 v[vgprValuC+172], acc115 // copy acc to vreg[124]
v_accvgpr_read_b32 v[vgprValuC+173], acc119 // copy acc to vreg[125]
v_accvgpr_read_b32 v[vgprValuC+174], acc123 // copy acc to vreg[126]
v_accvgpr_read_b32 v[vgprValuC+175], acc127 // copy acc to vreg[127]
v_accvgpr_read_b32 v[vgprValuC+176], acc128 // copy acc to vreg[128]
v_accvgpr_read_b32 v[vgprValuC+177], acc132 // copy acc to vreg[129]
v_accvgpr_read_b32 v[vgprValuC+178], acc136 // copy acc to vreg[130]
v_accvgpr_read_b32 v[vgprValuC+179], acc140 // copy acc to vreg[131]
v_accvgpr_read_b32 v[vgprValuC+180], acc144 // copy acc to vreg[132]
v_accvgpr_read_b32 v[vgprValuC+181], acc148 // copy acc to vreg[133]
v_accvgpr_read_b32 v[vgprValuC+182], acc152 // copy acc to vreg[134]
v_accvgpr_read_b32 v[vgprValuC+183], acc156 // copy acc to vreg[135]
v_accvgpr_read_b32 v[vgprValuC+192], acc129 // copy acc to vreg[136]
v_accvgpr_read_b32 v[vgprValuC+193], acc133 // copy acc to vreg[137]
v_accvgpr_read_b32 v[vgprValuC+194], acc137 // copy acc to vreg[138]
v_accvgpr_read_b32 v[vgprValuC+195], acc141 // copy acc to vreg[139]
v_accvgpr_read_b32 v[vgprValuC+196], acc145 // copy acc to vreg[140]
v_accvgpr_read_b32 v[vgprValuC+197], acc149 // copy acc to vreg[141]
v_accvgpr_read_b32 v[vgprValuC+198], acc153 // copy acc to vreg[142]
v_accvgpr_read_b32 v[vgprValuC+199], acc157 // copy acc to vreg[143]
v_accvgpr_read_b32 v[vgprValuC+200], acc130 // copy acc to vreg[144]
v_accvgpr_read_b32 v[vgprValuC+201], acc134 // copy acc to vreg[145]
v_accvgpr_read_b32 v[vgprValuC+202], acc138 // copy acc to vreg[146]
v_accvgpr_read_b32 v[vgprValuC+203], acc142 // copy acc to vreg[147]
v_accvgpr_read_b32 v[vgprValuC+204], acc146 // copy acc to vreg[148]
v_accvgpr_read_b32 v[vgprValuC+205], acc150 // copy acc to vreg[149]
v_accvgpr_read_b32 v[vgprValuC+206], acc154 // copy acc to vreg[150]
v_accvgpr_read_b32 v[vgprValuC+207], acc158 // copy acc to vreg[151]
v_accvgpr_read_b32 v[vgprValuC+208], acc131 // copy acc to vreg[152]
v_accvgpr_read_b32 v[vgprValuC+209], acc135 // copy acc to vreg[153]
v_accvgpr_read_b32 v[vgprValuC+210], acc139 // copy acc to vreg[154]
v_accvgpr_read_b32 v[vgprValuC+211], acc143 // copy acc to vreg[155]
v_accvgpr_read_b32 v[vgprValuC+212], acc147 // copy acc to vreg[156]
v_accvgpr_read_b32 v[vgprValuC+213], acc151 // copy acc to vreg[157]
v_accvgpr_read_b32 v[vgprValuC+214], acc155 // copy acc to vreg[158]
v_accvgpr_read_b32 v[vgprValuC+215], acc159 // copy acc to vreg[159]
v_accvgpr_read_b32 v[vgprValuC+216], acc160 // copy acc to vreg[160]
v_accvgpr_read_b32 v[vgprValuC+217], acc164 // copy acc to vreg[161]
v_accvgpr_read_b32 v[vgprValuC+218], acc168 // copy acc to vreg[162]
v_accvgpr_read_b32 v[vgprValuC+219], acc172 // copy acc to vreg[163]
v_accvgpr_read_b32 v[vgprValuC+220], acc176 // copy acc to vreg[164]
v_accvgpr_read_b32 v[vgprValuC+221], acc180 // copy acc to vreg[165]
v_accvgpr_read_b32 v[vgprValuC+222], acc184 // copy acc to vreg[166]
v_accvgpr_read_b32 v[vgprValuC+223], acc188 // copy acc to vreg[167]
v_accvgpr_read_b32 v[vgprValuC+232], acc161 // copy acc to vreg[168]
v_accvgpr_read_b32 v[vgprValuC+233], acc165 // copy acc to vreg[169]
v_accvgpr_read_b32 v[vgprValuC+234], acc169 // copy acc to vreg[170]
v_accvgpr_read_b32 v[vgprValuC+235], acc173 // copy acc to vreg[171]
v_accvgpr_read_b32 v[vgprValuC+236], acc177 // copy acc to vreg[172]
v_accvgpr_read_b32 v[vgprValuC+237], acc181 // copy acc to vreg[173]
v_accvgpr_read_b32 v[vgprValuC+238], acc185 // copy acc to vreg[174]
v_accvgpr_read_b32 v[vgprValuC+239], acc189 // copy acc to vreg[175]
s_nop 1                                            // 2 wait states required before reading vgpr

/* rC *= alpha batchElements=[(0, 0, 0, 0), (0, 0, 1, 0), (0, 0, 2, 0), (0, 0, 3, 0), (1, 0, 0, 0), (1, 0, 1, 0), (1, 0, 2, 0), (1, 0, 3, 0), (2, 0, 0, 0), (2, 0, 1, 0), (2, 0, 2, 0), (2, 0, 3, 0), (3, 0, 0, 0), (3, 0, 1, 0), (3, 0, 2, 0), (3, 0, 3, 0), (4, 0, 0, 0), (4, 0, 1, 0), (4, 0, 2, 0), (4, 0, 3, 0), (5, 0, 0, 0), (5, 0, 1, 0)] */
v_mul_f32 v[vgprValuC+16], s[sgprAlpha], v[vgprValuC+16] // *= alpha
v_mul_f32 v[vgprValuC+17], s[sgprAlpha], v[vgprValuC+17] // *= alpha
	;; [unrolled: 1-line block ×176, first 2 shown]

/* apply mask, calc new C and issue writes */
v_mov_b32 v10, 0x207                               // flag for Nan and +/- inf
v_mov_b32 v8, 0x47600000                           // save 57344.0f as max for clipping
v_mov_b32 v9, 0xC7600000                           // save -57344`.0f as min for clipping

s_waitcnt vmcnt(21)                                // wait C (interleaved) 21 = 22 - 0 + 0 - 1
V_cvt_pk_f32_bf8 v[6:7], v14    // convert two f8 in lo_16 to f32
_v_mac_f32 v[vgprValuC+16], v6, s[sgprBeta]        // finalSum = sum*alpha + C*beta
_v_mac_f32 v[vgprValuC+17], v7, s[sgprBeta]        // finalSum = sum*alpha + C*beta
V_cvt_pk_f32_bf8 v[6:7], v14  src0_sel:WORD_1  // convert two f8 in hi_16 to f32
_v_mac_f32 v[vgprValuC+18], v6, s[sgprBeta]        // finalSum = sum*alpha + C*beta
_v_mac_f32 v[vgprValuC+19], v7, s[sgprBeta]        // finalSum = sum*alpha + C*beta
V_cvt_pk_f32_bf8 v[6:7], v15    // convert two f8 in lo_16 to f32
_v_mac_f32 v[vgprValuC+20], v6, s[sgprBeta]        // finalSum = sum*alpha + C*beta
_v_mac_f32 v[vgprValuC+21], v7, s[sgprBeta]        // finalSum = sum*alpha + C*beta
V_cvt_pk_f32_bf8 v[6:7], v15  src0_sel:WORD_1  // convert two f8 in hi_16 to f32
_v_mac_f32 v[vgprValuC+22], v6, s[sgprBeta]        // finalSum = sum*alpha + C*beta
_v_mac_f32 v[vgprValuC+23], v7, s[sgprBeta]        // finalSum = sum*alpha + C*beta
v_cmp_class_f32 s[54:55], v[vgprValuC+16], v10     // check NaN and +/-INF
v_med3_f32 v6, v[vgprValuC+16], v8, v9             // Clipping f32 value if exceeds the limit
v_cndmask_b32 v6, v6, v[vgprValuC+16], s[54:55]    // 
v_cmp_class_f32 s[54:55], v[vgprValuC+17], v10     // check NaN and +/-INF
v_med3_f32 v7, v[vgprValuC+17], v8, v9             // Clipping f32 value if exceeds the limit
v_cndmask_b32 v7, v7, v[vgprValuC+17], s[54:55]    // 
v_cvt_pk_bf8_f32  v16, v6, v7 op_sel:[0,0,0]       // convert two f32 accumulated values to fp8 and save it to lo_16[0:15]
v_cmp_class_f32 s[54:55], v[vgprValuC+18], v10     // check NaN and +/-INF
v_med3_f32 v6, v[vgprValuC+18], v8, v9             // Clipping f32 value if exceeds the limit
v_cndmask_b32 v6, v6, v[vgprValuC+18], s[54:55]    // 
v_cmp_class_f32 s[54:55], v[vgprValuC+19], v10     // check NaN and +/-INF
v_med3_f32 v7, v[vgprValuC+19], v8, v9             // Clipping f32 value if exceeds the limit
v_cndmask_b32 v7, v7, v[vgprValuC+19], s[54:55]    // 
v_cvt_pk_bf8_f32  v16, v6, v7 op_sel:[0,0,1]       // convert two f32 accumulated values to fp8 and save it to hi_16[16:31]
v_cmp_class_f32 s[54:55], v[vgprValuC+20], v10     // check NaN and +/-INF
v_med3_f32 v6, v[vgprValuC+20], v8, v9             // Clipping f32 value if exceeds the limit
v_cndmask_b32 v6, v6, v[vgprValuC+20], s[54:55]    // 
v_cmp_class_f32 s[54:55], v[vgprValuC+21], v10     // check NaN and +/-INF
v_med3_f32 v7, v[vgprValuC+21], v8, v9             // Clipping f32 value if exceeds the limit
v_cndmask_b32 v7, v7, v[vgprValuC+21], s[54:55]    // 
v_cvt_pk_bf8_f32  v17, v6, v7 op_sel:[0,0,0]       // convert two f32 accumulated values to fp8 and save it to lo_16[0:15]
v_cmp_class_f32 s[54:55], v[vgprValuC+22], v10     // check NaN and +/-INF
v_med3_f32 v6, v[vgprValuC+22], v8, v9             // Clipping f32 value if exceeds the limit
v_cndmask_b32 v6, v6, v[vgprValuC+22], s[54:55]    // 
v_cmp_class_f32 s[54:55], v[vgprValuC+23], v10     // check NaN and +/-INF
v_med3_f32 v7, v[vgprValuC+23], v8, v9             // Clipping f32 value if exceeds the limit
v_cndmask_b32 v7, v7, v[vgprValuC+23], s[54:55]    // 
v_cvt_pk_bf8_f32  v17, v6, v7 op_sel:[0,0,1]       // convert two f32 accumulated values to fp8 and save it to hi_16[16:31]
_buffer_store_b64 v[16:17], v11, s[sgprSrdD:sgprSrdD+3], 0, offen, offset:0,  sc0 sc1 // store D

s_waitcnt vmcnt(21)                                // wait C (interleaved) 21 = 22 - 1 + 1 - 1
V_cvt_pk_f32_bf8 v[6:7], v24    // convert two f8 in lo_16 to f32
_v_mac_f32 v[vgprValuC+32], v6, s[sgprBeta]        // finalSum = sum*alpha + C*beta
_v_mac_f32 v[vgprValuC+33], v7, s[sgprBeta]        // finalSum = sum*alpha + C*beta
V_cvt_pk_f32_bf8 v[6:7], v24  src0_sel:WORD_1  // convert two f8 in hi_16 to f32
_v_mac_f32 v[vgprValuC+34], v6, s[sgprBeta]        // finalSum = sum*alpha + C*beta
_v_mac_f32 v[vgprValuC+35], v7, s[sgprBeta]        // finalSum = sum*alpha + C*beta
V_cvt_pk_f32_bf8 v[6:7], v25    // convert two f8 in lo_16 to f32
_v_mac_f32 v[vgprValuC+36], v6, s[sgprBeta]        // finalSum = sum*alpha + C*beta
_v_mac_f32 v[vgprValuC+37], v7, s[sgprBeta]        // finalSum = sum*alpha + C*beta
V_cvt_pk_f32_bf8 v[6:7], v25  src0_sel:WORD_1  // convert two f8 in hi_16 to f32
_v_mac_f32 v[vgprValuC+38], v6, s[sgprBeta]        // finalSum = sum*alpha + C*beta
_v_mac_f32 v[vgprValuC+39], v7, s[sgprBeta]        // finalSum = sum*alpha + C*beta
v_cmp_class_f32 s[54:55], v[vgprValuC+32], v10     // check NaN and +/-INF
v_med3_f32 v6, v[vgprValuC+32], v8, v9             // Clipping f32 value if exceeds the limit
v_cndmask_b32 v6, v6, v[vgprValuC+32], s[54:55]    // 
v_cmp_class_f32 s[54:55], v[vgprValuC+33], v10     // check NaN and +/-INF
v_med3_f32 v7, v[vgprValuC+33], v8, v9             // Clipping f32 value if exceeds the limit
v_cndmask_b32 v7, v7, v[vgprValuC+33], s[54:55]    // 
v_cvt_pk_bf8_f32  v32, v6, v7 op_sel:[0,0,0]       // convert two f32 accumulated values to fp8 and save it to lo_16[0:15]
v_cmp_class_f32 s[54:55], v[vgprValuC+34], v10     // check NaN and +/-INF
v_med3_f32 v6, v[vgprValuC+34], v8, v9             // Clipping f32 value if exceeds the limit
v_cndmask_b32 v6, v6, v[vgprValuC+34], s[54:55]    // 
v_cmp_class_f32 s[54:55], v[vgprValuC+35], v10     // check NaN and +/-INF
v_med3_f32 v7, v[vgprValuC+35], v8, v9             // Clipping f32 value if exceeds the limit
v_cndmask_b32 v7, v7, v[vgprValuC+35], s[54:55]    // 
v_cvt_pk_bf8_f32  v32, v6, v7 op_sel:[0,0,1]       // convert two f32 accumulated values to fp8 and save it to hi_16[16:31]
v_cmp_class_f32 s[54:55], v[vgprValuC+36], v10     // check NaN and +/-INF
v_med3_f32 v6, v[vgprValuC+36], v8, v9             // Clipping f32 value if exceeds the limit
v_cndmask_b32 v6, v6, v[vgprValuC+36], s[54:55]    // 
v_cmp_class_f32 s[54:55], v[vgprValuC+37], v10     // check NaN and +/-INF
v_med3_f32 v7, v[vgprValuC+37], v8, v9             // Clipping f32 value if exceeds the limit
v_cndmask_b32 v7, v7, v[vgprValuC+37], s[54:55]    // 
v_cvt_pk_bf8_f32  v33, v6, v7 op_sel:[0,0,0]       // convert two f32 accumulated values to fp8 and save it to lo_16[0:15]
v_cmp_class_f32 s[54:55], v[vgprValuC+38], v10     // check NaN and +/-INF
v_med3_f32 v6, v[vgprValuC+38], v8, v9             // Clipping f32 value if exceeds the limit
v_cndmask_b32 v6, v6, v[vgprValuC+38], s[54:55]    // 
v_cmp_class_f32 s[54:55], v[vgprValuC+39], v10     // check NaN and +/-INF
v_med3_f32 v7, v[vgprValuC+39], v8, v9             // Clipping f32 value if exceeds the limit
v_cndmask_b32 v7, v7, v[vgprValuC+39], s[54:55]    // 
v_cvt_pk_bf8_f32  v33, v6, v7 op_sel:[0,0,1]       // convert two f32 accumulated values to fp8 and save it to hi_16[16:31]
s_lshl_b32  s54, s[sgprStrideD1J], 0               // incToNextRow: Scale by BPE
s_add_u32  s[sgprSrdD+0], s[sgprSrdD+0], s54       // incToNextRow: gra SRD += inc(lower)
s_addc_u32  s[sgprSrdD+1], s[sgprSrdD+1], 0        // incToNextRow: gra SRD += inc(upper)
_buffer_store_b64 v[32:33], v11, s[sgprSrdD:sgprSrdD+3], 0, offen, offset:0,  sc0 sc1 // store D

s_waitcnt vmcnt(21)                                // wait C (interleaved) 21 = 22 - 2 + 2 - 1
V_cvt_pk_f32_bf8 v[6:7], v26    // convert two f8 in lo_16 to f32
_v_mac_f32 v[vgprValuC+40], v6, s[sgprBeta]        // finalSum = sum*alpha + C*beta
_v_mac_f32 v[vgprValuC+41], v7, s[sgprBeta]        // finalSum = sum*alpha + C*beta
V_cvt_pk_f32_bf8 v[6:7], v26  src0_sel:WORD_1  // convert two f8 in hi_16 to f32
_v_mac_f32 v[vgprValuC+42], v6, s[sgprBeta]        // finalSum = sum*alpha + C*beta
_v_mac_f32 v[vgprValuC+43], v7, s[sgprBeta]        // finalSum = sum*alpha + C*beta
V_cvt_pk_f32_bf8 v[6:7], v27    // convert two f8 in lo_16 to f32
_v_mac_f32 v[vgprValuC+44], v6, s[sgprBeta]        // finalSum = sum*alpha + C*beta
_v_mac_f32 v[vgprValuC+45], v7, s[sgprBeta]        // finalSum = sum*alpha + C*beta
V_cvt_pk_f32_bf8 v[6:7], v27  src0_sel:WORD_1  // convert two f8 in hi_16 to f32
_v_mac_f32 v[vgprValuC+46], v6, s[sgprBeta]        // finalSum = sum*alpha + C*beta
_v_mac_f32 v[vgprValuC+47], v7, s[sgprBeta]        // finalSum = sum*alpha + C*beta
v_cmp_class_f32 s[54:55], v[vgprValuC+40], v10     // check NaN and +/-INF
v_med3_f32 v6, v[vgprValuC+40], v8, v9             // Clipping f32 value if exceeds the limit
v_cndmask_b32 v6, v6, v[vgprValuC+40], s[54:55]    // 
v_cmp_class_f32 s[54:55], v[vgprValuC+41], v10     // check NaN and +/-INF
v_med3_f32 v7, v[vgprValuC+41], v8, v9             // Clipping f32 value if exceeds the limit
v_cndmask_b32 v7, v7, v[vgprValuC+41], s[54:55]    // 
v_cvt_pk_bf8_f32  v40, v6, v7 op_sel:[0,0,0]       // convert two f32 accumulated values to fp8 and save it to lo_16[0:15]
v_cmp_class_f32 s[54:55], v[vgprValuC+42], v10     // check NaN and +/-INF
v_med3_f32 v6, v[vgprValuC+42], v8, v9             // Clipping f32 value if exceeds the limit
v_cndmask_b32 v6, v6, v[vgprValuC+42], s[54:55]    // 
v_cmp_class_f32 s[54:55], v[vgprValuC+43], v10     // check NaN and +/-INF
v_med3_f32 v7, v[vgprValuC+43], v8, v9             // Clipping f32 value if exceeds the limit
v_cndmask_b32 v7, v7, v[vgprValuC+43], s[54:55]    // 
v_cvt_pk_bf8_f32  v40, v6, v7 op_sel:[0,0,1]       // convert two f32 accumulated values to fp8 and save it to hi_16[16:31]
v_cmp_class_f32 s[54:55], v[vgprValuC+44], v10     // check NaN and +/-INF
v_med3_f32 v6, v[vgprValuC+44], v8, v9             // Clipping f32 value if exceeds the limit
v_cndmask_b32 v6, v6, v[vgprValuC+44], s[54:55]    // 
v_cmp_class_f32 s[54:55], v[vgprValuC+45], v10     // check NaN and +/-INF
v_med3_f32 v7, v[vgprValuC+45], v8, v9             // Clipping f32 value if exceeds the limit
v_cndmask_b32 v7, v7, v[vgprValuC+45], s[54:55]    // 
v_cvt_pk_bf8_f32  v41, v6, v7 op_sel:[0,0,0]       // convert two f32 accumulated values to fp8 and save it to lo_16[0:15]
v_cmp_class_f32 s[54:55], v[vgprValuC+46], v10     // check NaN and +/-INF
v_med3_f32 v6, v[vgprValuC+46], v8, v9             // Clipping f32 value if exceeds the limit
v_cndmask_b32 v6, v6, v[vgprValuC+46], s[54:55]    // 
v_cmp_class_f32 s[54:55], v[vgprValuC+47], v10     // check NaN and +/-INF
v_med3_f32 v7, v[vgprValuC+47], v8, v9             // Clipping f32 value if exceeds the limit
v_cndmask_b32 v7, v7, v[vgprValuC+47], s[54:55]    // 
v_cvt_pk_bf8_f32  v41, v6, v7 op_sel:[0,0,1]       // convert two f32 accumulated values to fp8 and save it to hi_16[16:31]
s_lshl_b32  s54, s[sgprStrideD1J], 0               // incToNextRow: Scale by BPE
s_add_u32  s[sgprSrdD+0], s[sgprSrdD+0], s54       // incToNextRow: gra SRD += inc(lower)
s_addc_u32  s[sgprSrdD+1], s[sgprSrdD+1], 0        // incToNextRow: gra SRD += inc(upper)
	;; [unrolled: 46-line block ×3, first 2 shown]
_buffer_store_b64 v[48:49], v11, s[sgprSrdD:sgprSrdD+3], 0, offen, offset:0,  sc0 sc1 // store D

s_waitcnt vmcnt(21)                                // wait C (interleaved) 21 = 22 - 4 + 4 - 1
V_cvt_pk_f32_bf8 v[6:7], v30    // convert two f8 in lo_16 to f32
_v_mac_f32 v[vgprValuC+56], v6, s[sgprBeta]        // finalSum = sum*alpha + C*beta
_v_mac_f32 v[vgprValuC+57], v7, s[sgprBeta]        // finalSum = sum*alpha + C*beta
V_cvt_pk_f32_bf8 v[6:7], v30  src0_sel:WORD_1  // convert two f8 in hi_16 to f32
_v_mac_f32 v[vgprValuC+58], v6, s[sgprBeta]        // finalSum = sum*alpha + C*beta
_v_mac_f32 v[vgprValuC+59], v7, s[sgprBeta]        // finalSum = sum*alpha + C*beta
V_cvt_pk_f32_bf8 v[6:7], v31    // convert two f8 in lo_16 to f32
_v_mac_f32 v[vgprValuC+60], v6, s[sgprBeta]        // finalSum = sum*alpha + C*beta
_v_mac_f32 v[vgprValuC+61], v7, s[sgprBeta]        // finalSum = sum*alpha + C*beta
V_cvt_pk_f32_bf8 v[6:7], v31  src0_sel:WORD_1  // convert two f8 in hi_16 to f32
_v_mac_f32 v[vgprValuC+62], v6, s[sgprBeta]        // finalSum = sum*alpha + C*beta
_v_mac_f32 v[vgprValuC+63], v7, s[sgprBeta]        // finalSum = sum*alpha + C*beta
v_cmp_class_f32 s[54:55], v[vgprValuC+56], v10     // check NaN and +/-INF
v_med3_f32 v6, v[vgprValuC+56], v8, v9             // Clipping f32 value if exceeds the limit
v_cndmask_b32 v6, v6, v[vgprValuC+56], s[54:55]    // 
v_cmp_class_f32 s[54:55], v[vgprValuC+57], v10     // check NaN and +/-INF
v_med3_f32 v7, v[vgprValuC+57], v8, v9             // Clipping f32 value if exceeds the limit
v_cndmask_b32 v7, v7, v[vgprValuC+57], s[54:55]    // 
v_cvt_pk_bf8_f32  v56, v6, v7 op_sel:[0,0,0]       // convert two f32 accumulated values to fp8 and save it to lo_16[0:15]
v_cmp_class_f32 s[54:55], v[vgprValuC+58], v10     // check NaN and +/-INF
v_med3_f32 v6, v[vgprValuC+58], v8, v9             // Clipping f32 value if exceeds the limit
v_cndmask_b32 v6, v6, v[vgprValuC+58], s[54:55]    // 
v_cmp_class_f32 s[54:55], v[vgprValuC+59], v10     // check NaN and +/-INF
v_med3_f32 v7, v[vgprValuC+59], v8, v9             // Clipping f32 value if exceeds the limit
v_cndmask_b32 v7, v7, v[vgprValuC+59], s[54:55]    // 
v_cvt_pk_bf8_f32  v56, v6, v7 op_sel:[0,0,1]       // convert two f32 accumulated values to fp8 and save it to hi_16[16:31]
v_cmp_class_f32 s[54:55], v[vgprValuC+60], v10     // check NaN and +/-INF
v_med3_f32 v6, v[vgprValuC+60], v8, v9             // Clipping f32 value if exceeds the limit
v_cndmask_b32 v6, v6, v[vgprValuC+60], s[54:55]    // 
v_cmp_class_f32 s[54:55], v[vgprValuC+61], v10     // check NaN and +/-INF
v_med3_f32 v7, v[vgprValuC+61], v8, v9             // Clipping f32 value if exceeds the limit
v_cndmask_b32 v7, v7, v[vgprValuC+61], s[54:55]    // 
v_cvt_pk_bf8_f32  v57, v6, v7 op_sel:[0,0,0]       // convert two f32 accumulated values to fp8 and save it to lo_16[0:15]
v_cmp_class_f32 s[54:55], v[vgprValuC+62], v10     // check NaN and +/-INF
v_med3_f32 v6, v[vgprValuC+62], v8, v9             // Clipping f32 value if exceeds the limit
v_cndmask_b32 v6, v6, v[vgprValuC+62], s[54:55]    // 
v_cmp_class_f32 s[54:55], v[vgprValuC+63], v10     // check NaN and +/-INF
v_med3_f32 v7, v[vgprValuC+63], v8, v9             // Clipping f32 value if exceeds the limit
v_cndmask_b32 v7, v7, v[vgprValuC+63], s[54:55]    // 
v_cvt_pk_bf8_f32  v57, v6, v7 op_sel:[0,0,1]       // convert two f32 accumulated values to fp8 and save it to hi_16[16:31]
s_mul_i32 s54, s[sgprStrideD1J], 29                // scale StrideD *= numRows(29) * bpe
s_add_u32  s[sgprSrdD+0], s[sgprSrdD+0], s54       // incToNextRow: gra SRD += inc(lower)
s_addc_u32  s[sgprSrdD+1], s[sgprSrdD+1], 0        // incToNextRow: gra SRD += inc(upper)
_buffer_store_b64 v[56:57], v11, s[sgprSrdD:sgprSrdD+3], 0, offen, offset:0,  sc0 sc1 // store D

s_waitcnt vmcnt(21)                                // wait C (interleaved) 21 = 22 - 5 + 5 - 1
V_cvt_pk_f32_bf8 v[6:7], v64    // convert two f8 in lo_16 to f32
_v_mac_f32 v[vgprValuC+72], v6, s[sgprBeta]        // finalSum = sum*alpha + C*beta
_v_mac_f32 v[vgprValuC+73], v7, s[sgprBeta]        // finalSum = sum*alpha + C*beta
V_cvt_pk_f32_bf8 v[6:7], v64  src0_sel:WORD_1  // convert two f8 in hi_16 to f32
_v_mac_f32 v[vgprValuC+74], v6, s[sgprBeta]        // finalSum = sum*alpha + C*beta
_v_mac_f32 v[vgprValuC+75], v7, s[sgprBeta]        // finalSum = sum*alpha + C*beta
V_cvt_pk_f32_bf8 v[6:7], v65    // convert two f8 in lo_16 to f32
_v_mac_f32 v[vgprValuC+76], v6, s[sgprBeta]        // finalSum = sum*alpha + C*beta
_v_mac_f32 v[vgprValuC+77], v7, s[sgprBeta]        // finalSum = sum*alpha + C*beta
V_cvt_pk_f32_bf8 v[6:7], v65  src0_sel:WORD_1  // convert two f8 in hi_16 to f32
_v_mac_f32 v[vgprValuC+78], v6, s[sgprBeta]        // finalSum = sum*alpha + C*beta
_v_mac_f32 v[vgprValuC+79], v7, s[sgprBeta]        // finalSum = sum*alpha + C*beta
v_cmp_class_f32 s[54:55], v[vgprValuC+72], v10     // check NaN and +/-INF
v_med3_f32 v6, v[vgprValuC+72], v8, v9             // Clipping f32 value if exceeds the limit
v_cndmask_b32 v6, v6, v[vgprValuC+72], s[54:55]    // 
v_cmp_class_f32 s[54:55], v[vgprValuC+73], v10     // check NaN and +/-INF
v_med3_f32 v7, v[vgprValuC+73], v8, v9             // Clipping f32 value if exceeds the limit
v_cndmask_b32 v7, v7, v[vgprValuC+73], s[54:55]    // 
v_cvt_pk_bf8_f32  v72, v6, v7 op_sel:[0,0,0]       // convert two f32 accumulated values to fp8 and save it to lo_16[0:15]
v_cmp_class_f32 s[54:55], v[vgprValuC+74], v10     // check NaN and +/-INF
v_med3_f32 v6, v[vgprValuC+74], v8, v9             // Clipping f32 value if exceeds the limit
v_cndmask_b32 v6, v6, v[vgprValuC+74], s[54:55]    // 
v_cmp_class_f32 s[54:55], v[vgprValuC+75], v10     // check NaN and +/-INF
v_med3_f32 v7, v[vgprValuC+75], v8, v9             // Clipping f32 value if exceeds the limit
v_cndmask_b32 v7, v7, v[vgprValuC+75], s[54:55]    // 
v_cvt_pk_bf8_f32  v72, v6, v7 op_sel:[0,0,1]       // convert two f32 accumulated values to fp8 and save it to hi_16[16:31]
v_cmp_class_f32 s[54:55], v[vgprValuC+76], v10     // check NaN and +/-INF
v_med3_f32 v6, v[vgprValuC+76], v8, v9             // Clipping f32 value if exceeds the limit
v_cndmask_b32 v6, v6, v[vgprValuC+76], s[54:55]    // 
v_cmp_class_f32 s[54:55], v[vgprValuC+77], v10     // check NaN and +/-INF
v_med3_f32 v7, v[vgprValuC+77], v8, v9             // Clipping f32 value if exceeds the limit
v_cndmask_b32 v7, v7, v[vgprValuC+77], s[54:55]    // 
v_cvt_pk_bf8_f32  v73, v6, v7 op_sel:[0,0,0]       // convert two f32 accumulated values to fp8 and save it to lo_16[0:15]
v_cmp_class_f32 s[54:55], v[vgprValuC+78], v10     // check NaN and +/-INF
v_med3_f32 v6, v[vgprValuC+78], v8, v9             // Clipping f32 value if exceeds the limit
v_cndmask_b32 v6, v6, v[vgprValuC+78], s[54:55]    // 
v_cmp_class_f32 s[54:55], v[vgprValuC+79], v10     // check NaN and +/-INF
v_med3_f32 v7, v[vgprValuC+79], v8, v9             // Clipping f32 value if exceeds the limit
v_cndmask_b32 v7, v7, v[vgprValuC+79], s[54:55]    // 
v_cvt_pk_bf8_f32  v73, v6, v7 op_sel:[0,0,1]       // convert two f32 accumulated values to fp8 and save it to hi_16[16:31]
s_lshl_b32  s54, s[sgprStrideD1J], 0               // incToNextRow: Scale by BPE
s_add_u32  s[sgprSrdD+0], s[sgprSrdD+0], s54       // incToNextRow: gra SRD += inc(lower)
s_addc_u32  s[sgprSrdD+1], s[sgprSrdD+1], 0        // incToNextRow: gra SRD += inc(upper)
_buffer_store_b64 v[72:73], v11, s[sgprSrdD:sgprSrdD+3], 0, offen, offset:0,  sc0 sc1 // store D

s_waitcnt vmcnt(21)                                // wait C (interleaved) 21 = 22 - 6 + 6 - 1
V_cvt_pk_f32_bf8 v[6:7], v66    // convert two f8 in lo_16 to f32
_v_mac_f32 v[vgprValuC+80], v6, s[sgprBeta]        // finalSum = sum*alpha + C*beta
_v_mac_f32 v[vgprValuC+81], v7, s[sgprBeta]        // finalSum = sum*alpha + C*beta
V_cvt_pk_f32_bf8 v[6:7], v66  src0_sel:WORD_1  // convert two f8 in hi_16 to f32
_v_mac_f32 v[vgprValuC+82], v6, s[sgprBeta]        // finalSum = sum*alpha + C*beta
_v_mac_f32 v[vgprValuC+83], v7, s[sgprBeta]        // finalSum = sum*alpha + C*beta
V_cvt_pk_f32_bf8 v[6:7], v67    // convert two f8 in lo_16 to f32
_v_mac_f32 v[vgprValuC+84], v6, s[sgprBeta]        // finalSum = sum*alpha + C*beta
_v_mac_f32 v[vgprValuC+85], v7, s[sgprBeta]        // finalSum = sum*alpha + C*beta
V_cvt_pk_f32_bf8 v[6:7], v67  src0_sel:WORD_1  // convert two f8 in hi_16 to f32
_v_mac_f32 v[vgprValuC+86], v6, s[sgprBeta]        // finalSum = sum*alpha + C*beta
_v_mac_f32 v[vgprValuC+87], v7, s[sgprBeta]        // finalSum = sum*alpha + C*beta
v_cmp_class_f32 s[54:55], v[vgprValuC+80], v10     // check NaN and +/-INF
v_med3_f32 v6, v[vgprValuC+80], v8, v9             // Clipping f32 value if exceeds the limit
v_cndmask_b32 v6, v6, v[vgprValuC+80], s[54:55]    // 
v_cmp_class_f32 s[54:55], v[vgprValuC+81], v10     // check NaN and +/-INF
v_med3_f32 v7, v[vgprValuC+81], v8, v9             // Clipping f32 value if exceeds the limit
v_cndmask_b32 v7, v7, v[vgprValuC+81], s[54:55]    // 
v_cvt_pk_bf8_f32  v80, v6, v7 op_sel:[0,0,0]       // convert two f32 accumulated values to fp8 and save it to lo_16[0:15]
v_cmp_class_f32 s[54:55], v[vgprValuC+82], v10     // check NaN and +/-INF
v_med3_f32 v6, v[vgprValuC+82], v8, v9             // Clipping f32 value if exceeds the limit
v_cndmask_b32 v6, v6, v[vgprValuC+82], s[54:55]    // 
v_cmp_class_f32 s[54:55], v[vgprValuC+83], v10     // check NaN and +/-INF
v_med3_f32 v7, v[vgprValuC+83], v8, v9             // Clipping f32 value if exceeds the limit
v_cndmask_b32 v7, v7, v[vgprValuC+83], s[54:55]    // 
v_cvt_pk_bf8_f32  v80, v6, v7 op_sel:[0,0,1]       // convert two f32 accumulated values to fp8 and save it to hi_16[16:31]
v_cmp_class_f32 s[54:55], v[vgprValuC+84], v10     // check NaN and +/-INF
v_med3_f32 v6, v[vgprValuC+84], v8, v9             // Clipping f32 value if exceeds the limit
v_cndmask_b32 v6, v6, v[vgprValuC+84], s[54:55]    // 
v_cmp_class_f32 s[54:55], v[vgprValuC+85], v10     // check NaN and +/-INF
v_med3_f32 v7, v[vgprValuC+85], v8, v9             // Clipping f32 value if exceeds the limit
v_cndmask_b32 v7, v7, v[vgprValuC+85], s[54:55]    // 
v_cvt_pk_bf8_f32  v81, v6, v7 op_sel:[0,0,0]       // convert two f32 accumulated values to fp8 and save it to lo_16[0:15]
v_cmp_class_f32 s[54:55], v[vgprValuC+86], v10     // check NaN and +/-INF
v_med3_f32 v6, v[vgprValuC+86], v8, v9             // Clipping f32 value if exceeds the limit
v_cndmask_b32 v6, v6, v[vgprValuC+86], s[54:55]    // 
v_cmp_class_f32 s[54:55], v[vgprValuC+87], v10     // check NaN and +/-INF
v_med3_f32 v7, v[vgprValuC+87], v8, v9             // Clipping f32 value if exceeds the limit
v_cndmask_b32 v7, v7, v[vgprValuC+87], s[54:55]    // 
v_cvt_pk_bf8_f32  v81, v6, v7 op_sel:[0,0,1]       // convert two f32 accumulated values to fp8 and save it to hi_16[16:31]
s_lshl_b32  s54, s[sgprStrideD1J], 0               // incToNextRow: Scale by BPE
	;; [unrolled: 46-line block ×3, first 2 shown]
s_add_u32  s[sgprSrdD+0], s[sgprSrdD+0], s54       // incToNextRow: gra SRD += inc(lower)
s_addc_u32  s[sgprSrdD+1], s[sgprSrdD+1], 0        // incToNextRow: gra SRD += inc(upper)
_buffer_store_b64 v[88:89], v11, s[sgprSrdD:sgprSrdD+3], 0, offen, offset:0,  sc0 sc1 // store D

s_waitcnt vmcnt(21)                                // wait C (interleaved) 21 = 22 - 8 + 8 - 1
V_cvt_pk_f32_bf8 v[6:7], v70    // convert two f8 in lo_16 to f32
_v_mac_f32 v[vgprValuC+96], v6, s[sgprBeta]        // finalSum = sum*alpha + C*beta
_v_mac_f32 v[vgprValuC+97], v7, s[sgprBeta]        // finalSum = sum*alpha + C*beta
V_cvt_pk_f32_bf8 v[6:7], v70  src0_sel:WORD_1  // convert two f8 in hi_16 to f32
_v_mac_f32 v[vgprValuC+98], v6, s[sgprBeta]        // finalSum = sum*alpha + C*beta
_v_mac_f32 v[vgprValuC+99], v7, s[sgprBeta]        // finalSum = sum*alpha + C*beta
V_cvt_pk_f32_bf8 v[6:7], v71    // convert two f8 in lo_16 to f32
_v_mac_f32 v[vgprValuC+100], v6, s[sgprBeta]       // finalSum = sum*alpha + C*beta
_v_mac_f32 v[vgprValuC+101], v7, s[sgprBeta]       // finalSum = sum*alpha + C*beta
V_cvt_pk_f32_bf8 v[6:7], v71  src0_sel:WORD_1  // convert two f8 in hi_16 to f32
_v_mac_f32 v[vgprValuC+102], v6, s[sgprBeta]       // finalSum = sum*alpha + C*beta
_v_mac_f32 v[vgprValuC+103], v7, s[sgprBeta]       // finalSum = sum*alpha + C*beta
v_cmp_class_f32 s[54:55], v[vgprValuC+96], v10     // check NaN and +/-INF
v_med3_f32 v6, v[vgprValuC+96], v8, v9             // Clipping f32 value if exceeds the limit
v_cndmask_b32 v6, v6, v[vgprValuC+96], s[54:55]    // 
v_cmp_class_f32 s[54:55], v[vgprValuC+97], v10     // check NaN and +/-INF
v_med3_f32 v7, v[vgprValuC+97], v8, v9             // Clipping f32 value if exceeds the limit
v_cndmask_b32 v7, v7, v[vgprValuC+97], s[54:55]    // 
v_cvt_pk_bf8_f32  v96, v6, v7 op_sel:[0,0,0]       // convert two f32 accumulated values to fp8 and save it to lo_16[0:15]
v_cmp_class_f32 s[54:55], v[vgprValuC+98], v10     // check NaN and +/-INF
v_med3_f32 v6, v[vgprValuC+98], v8, v9             // Clipping f32 value if exceeds the limit
v_cndmask_b32 v6, v6, v[vgprValuC+98], s[54:55]    // 
v_cmp_class_f32 s[54:55], v[vgprValuC+99], v10     // check NaN and +/-INF
v_med3_f32 v7, v[vgprValuC+99], v8, v9             // Clipping f32 value if exceeds the limit
v_cndmask_b32 v7, v7, v[vgprValuC+99], s[54:55]    // 
v_cvt_pk_bf8_f32  v96, v6, v7 op_sel:[0,0,1]       // convert two f32 accumulated values to fp8 and save it to hi_16[16:31]
v_cmp_class_f32 s[54:55], v[vgprValuC+100], v10    // check NaN and +/-INF
v_med3_f32 v6, v[vgprValuC+100], v8, v9            // Clipping f32 value if exceeds the limit
v_cndmask_b32 v6, v6, v[vgprValuC+100], s[54:55]   // 
v_cmp_class_f32 s[54:55], v[vgprValuC+101], v10    // check NaN and +/-INF
v_med3_f32 v7, v[vgprValuC+101], v8, v9            // Clipping f32 value if exceeds the limit
v_cndmask_b32 v7, v7, v[vgprValuC+101], s[54:55]   // 
v_cvt_pk_bf8_f32  v97, v6, v7 op_sel:[0,0,0]       // convert two f32 accumulated values to fp8 and save it to lo_16[0:15]
v_cmp_class_f32 s[54:55], v[vgprValuC+102], v10    // check NaN and +/-INF
v_med3_f32 v6, v[vgprValuC+102], v8, v9            // Clipping f32 value if exceeds the limit
v_cndmask_b32 v6, v6, v[vgprValuC+102], s[54:55]   // 
v_cmp_class_f32 s[54:55], v[vgprValuC+103], v10    // check NaN and +/-INF
v_med3_f32 v7, v[vgprValuC+103], v8, v9            // Clipping f32 value if exceeds the limit
v_cndmask_b32 v7, v7, v[vgprValuC+103], s[54:55]   // 
v_cvt_pk_bf8_f32  v97, v6, v7 op_sel:[0,0,1]       // convert two f32 accumulated values to fp8 and save it to hi_16[16:31]
s_mul_i32 s54, s[sgprStrideD1J], 29                // scale StrideD *= numRows(29) * bpe
s_add_u32  s[sgprSrdD+0], s[sgprSrdD+0], s54       // incToNextRow: gra SRD += inc(lower)
s_addc_u32  s[sgprSrdD+1], s[sgprSrdD+1], 0        // incToNextRow: gra SRD += inc(upper)
_buffer_store_b64 v[96:97], v11, s[sgprSrdD:sgprSrdD+3], 0, offen, offset:0,  sc0 sc1 // store D

s_waitcnt vmcnt(21)                                // wait C (interleaved) 21 = 22 - 9 + 9 - 1
V_cvt_pk_f32_bf8 v[6:7], v104    // convert two f8 in lo_16 to f32
_v_mac_f32 v[vgprValuC+112], v6, s[sgprBeta]       // finalSum = sum*alpha + C*beta
_v_mac_f32 v[vgprValuC+113], v7, s[sgprBeta]       // finalSum = sum*alpha + C*beta
V_cvt_pk_f32_bf8 v[6:7], v104  src0_sel:WORD_1  // convert two f8 in hi_16 to f32
_v_mac_f32 v[vgprValuC+114], v6, s[sgprBeta]       // finalSum = sum*alpha + C*beta
_v_mac_f32 v[vgprValuC+115], v7, s[sgprBeta]       // finalSum = sum*alpha + C*beta
V_cvt_pk_f32_bf8 v[6:7], v105    // convert two f8 in lo_16 to f32
_v_mac_f32 v[vgprValuC+116], v6, s[sgprBeta]       // finalSum = sum*alpha + C*beta
_v_mac_f32 v[vgprValuC+117], v7, s[sgprBeta]       // finalSum = sum*alpha + C*beta
V_cvt_pk_f32_bf8 v[6:7], v105  src0_sel:WORD_1  // convert two f8 in hi_16 to f32
_v_mac_f32 v[vgprValuC+118], v6, s[sgprBeta]       // finalSum = sum*alpha + C*beta
_v_mac_f32 v[vgprValuC+119], v7, s[sgprBeta]       // finalSum = sum*alpha + C*beta
v_cmp_class_f32 s[54:55], v[vgprValuC+112], v10    // check NaN and +/-INF
v_med3_f32 v6, v[vgprValuC+112], v8, v9            // Clipping f32 value if exceeds the limit
v_cndmask_b32 v6, v6, v[vgprValuC+112], s[54:55]   // 
v_cmp_class_f32 s[54:55], v[vgprValuC+113], v10    // check NaN and +/-INF
v_med3_f32 v7, v[vgprValuC+113], v8, v9            // Clipping f32 value if exceeds the limit
v_cndmask_b32 v7, v7, v[vgprValuC+113], s[54:55]   // 
v_cvt_pk_bf8_f32  v112, v6, v7 op_sel:[0,0,0]      // convert two f32 accumulated values to fp8 and save it to lo_16[0:15]
v_cmp_class_f32 s[54:55], v[vgprValuC+114], v10    // check NaN and +/-INF
v_med3_f32 v6, v[vgprValuC+114], v8, v9            // Clipping f32 value if exceeds the limit
v_cndmask_b32 v6, v6, v[vgprValuC+114], s[54:55]   // 
v_cmp_class_f32 s[54:55], v[vgprValuC+115], v10    // check NaN and +/-INF
v_med3_f32 v7, v[vgprValuC+115], v8, v9            // Clipping f32 value if exceeds the limit
v_cndmask_b32 v7, v7, v[vgprValuC+115], s[54:55]   // 
v_cvt_pk_bf8_f32  v112, v6, v7 op_sel:[0,0,1]      // convert two f32 accumulated values to fp8 and save it to hi_16[16:31]
v_cmp_class_f32 s[54:55], v[vgprValuC+116], v10    // check NaN and +/-INF
v_med3_f32 v6, v[vgprValuC+116], v8, v9            // Clipping f32 value if exceeds the limit
v_cndmask_b32 v6, v6, v[vgprValuC+116], s[54:55]   // 
v_cmp_class_f32 s[54:55], v[vgprValuC+117], v10    // check NaN and +/-INF
v_med3_f32 v7, v[vgprValuC+117], v8, v9            // Clipping f32 value if exceeds the limit
v_cndmask_b32 v7, v7, v[vgprValuC+117], s[54:55]   // 
v_cvt_pk_bf8_f32  v113, v6, v7 op_sel:[0,0,0]      // convert two f32 accumulated values to fp8 and save it to lo_16[0:15]
v_cmp_class_f32 s[54:55], v[vgprValuC+118], v10    // check NaN and +/-INF
v_med3_f32 v6, v[vgprValuC+118], v8, v9            // Clipping f32 value if exceeds the limit
v_cndmask_b32 v6, v6, v[vgprValuC+118], s[54:55]   // 
v_cmp_class_f32 s[54:55], v[vgprValuC+119], v10    // check NaN and +/-INF
v_med3_f32 v7, v[vgprValuC+119], v8, v9            // Clipping f32 value if exceeds the limit
v_cndmask_b32 v7, v7, v[vgprValuC+119], s[54:55]   // 
v_cvt_pk_bf8_f32  v113, v6, v7 op_sel:[0,0,1]      // convert two f32 accumulated values to fp8 and save it to hi_16[16:31]
s_lshl_b32  s54, s[sgprStrideD1J], 0               // incToNextRow: Scale by BPE
s_add_u32  s[sgprSrdD+0], s[sgprSrdD+0], s54       // incToNextRow: gra SRD += inc(lower)
s_addc_u32  s[sgprSrdD+1], s[sgprSrdD+1], 0        // incToNextRow: gra SRD += inc(upper)
_buffer_store_b64 v[112:113], v11, s[sgprSrdD:sgprSrdD+3], 0, offen, offset:0,  sc0 sc1 // store D

s_waitcnt vmcnt(21)                                // wait C (interleaved) 21 = 22 - 10 + 10 - 1
V_cvt_pk_f32_bf8 v[6:7], v106    // convert two f8 in lo_16 to f32
_v_mac_f32 v[vgprValuC+120], v6, s[sgprBeta]       // finalSum = sum*alpha + C*beta
_v_mac_f32 v[vgprValuC+121], v7, s[sgprBeta]       // finalSum = sum*alpha + C*beta
V_cvt_pk_f32_bf8 v[6:7], v106  src0_sel:WORD_1  // convert two f8 in hi_16 to f32
_v_mac_f32 v[vgprValuC+122], v6, s[sgprBeta]       // finalSum = sum*alpha + C*beta
_v_mac_f32 v[vgprValuC+123], v7, s[sgprBeta]       // finalSum = sum*alpha + C*beta
V_cvt_pk_f32_bf8 v[6:7], v107    // convert two f8 in lo_16 to f32
_v_mac_f32 v[vgprValuC+124], v6, s[sgprBeta]       // finalSum = sum*alpha + C*beta
_v_mac_f32 v[vgprValuC+125], v7, s[sgprBeta]       // finalSum = sum*alpha + C*beta
V_cvt_pk_f32_bf8 v[6:7], v107  src0_sel:WORD_1  // convert two f8 in hi_16 to f32
_v_mac_f32 v[vgprValuC+126], v6, s[sgprBeta]       // finalSum = sum*alpha + C*beta
_v_mac_f32 v[vgprValuC+127], v7, s[sgprBeta]       // finalSum = sum*alpha + C*beta
v_cmp_class_f32 s[54:55], v[vgprValuC+120], v10    // check NaN and +/-INF
v_med3_f32 v6, v[vgprValuC+120], v8, v9            // Clipping f32 value if exceeds the limit
v_cndmask_b32 v6, v6, v[vgprValuC+120], s[54:55]   // 
v_cmp_class_f32 s[54:55], v[vgprValuC+121], v10    // check NaN and +/-INF
v_med3_f32 v7, v[vgprValuC+121], v8, v9            // Clipping f32 value if exceeds the limit
v_cndmask_b32 v7, v7, v[vgprValuC+121], s[54:55]   // 
v_cvt_pk_bf8_f32  v120, v6, v7 op_sel:[0,0,0]      // convert two f32 accumulated values to fp8 and save it to lo_16[0:15]
v_cmp_class_f32 s[54:55], v[vgprValuC+122], v10    // check NaN and +/-INF
v_med3_f32 v6, v[vgprValuC+122], v8, v9            // Clipping f32 value if exceeds the limit
v_cndmask_b32 v6, v6, v[vgprValuC+122], s[54:55]   // 
v_cmp_class_f32 s[54:55], v[vgprValuC+123], v10    // check NaN and +/-INF
v_med3_f32 v7, v[vgprValuC+123], v8, v9            // Clipping f32 value if exceeds the limit
v_cndmask_b32 v7, v7, v[vgprValuC+123], s[54:55]   // 
v_cvt_pk_bf8_f32  v120, v6, v7 op_sel:[0,0,1]      // convert two f32 accumulated values to fp8 and save it to hi_16[16:31]
v_cmp_class_f32 s[54:55], v[vgprValuC+124], v10    // check NaN and +/-INF
v_med3_f32 v6, v[vgprValuC+124], v8, v9            // Clipping f32 value if exceeds the limit
v_cndmask_b32 v6, v6, v[vgprValuC+124], s[54:55]   // 
v_cmp_class_f32 s[54:55], v[vgprValuC+125], v10    // check NaN and +/-INF
v_med3_f32 v7, v[vgprValuC+125], v8, v9            // Clipping f32 value if exceeds the limit
v_cndmask_b32 v7, v7, v[vgprValuC+125], s[54:55]   // 
v_cvt_pk_bf8_f32  v121, v6, v7 op_sel:[0,0,0]      // convert two f32 accumulated values to fp8 and save it to lo_16[0:15]
v_cmp_class_f32 s[54:55], v[vgprValuC+126], v10    // check NaN and +/-INF
v_med3_f32 v6, v[vgprValuC+126], v8, v9            // Clipping f32 value if exceeds the limit
v_cndmask_b32 v6, v6, v[vgprValuC+126], s[54:55]   // 
v_cmp_class_f32 s[54:55], v[vgprValuC+127], v10    // check NaN and +/-INF
v_med3_f32 v7, v[vgprValuC+127], v8, v9            // Clipping f32 value if exceeds the limit
v_cndmask_b32 v7, v7, v[vgprValuC+127], s[54:55]   // 
v_cvt_pk_bf8_f32  v121, v6, v7 op_sel:[0,0,1]      // convert two f32 accumulated values to fp8 and save it to hi_16[16:31]
s_lshl_b32  s54, s[sgprStrideD1J], 0               // incToNextRow: Scale by BPE
	;; [unrolled: 46-line block ×3, first 2 shown]
s_add_u32  s[sgprSrdD+0], s[sgprSrdD+0], s54       // incToNextRow: gra SRD += inc(lower)
s_addc_u32  s[sgprSrdD+1], s[sgprSrdD+1], 0        // incToNextRow: gra SRD += inc(upper)
_buffer_store_b64 v[128:129], v11, s[sgprSrdD:sgprSrdD+3], 0, offen, offset:0,  sc0 sc1 // store D

s_waitcnt vmcnt(21)                                // wait C (interleaved) 21 = 22 - 12 + 12 - 1
V_cvt_pk_f32_bf8 v[6:7], v110    // convert two f8 in lo_16 to f32
_v_mac_f32 v[vgprValuC+136], v6, s[sgprBeta]       // finalSum = sum*alpha + C*beta
_v_mac_f32 v[vgprValuC+137], v7, s[sgprBeta]       // finalSum = sum*alpha + C*beta
V_cvt_pk_f32_bf8 v[6:7], v110  src0_sel:WORD_1  // convert two f8 in hi_16 to f32
_v_mac_f32 v[vgprValuC+138], v6, s[sgprBeta]       // finalSum = sum*alpha + C*beta
_v_mac_f32 v[vgprValuC+139], v7, s[sgprBeta]       // finalSum = sum*alpha + C*beta
V_cvt_pk_f32_bf8 v[6:7], v111    // convert two f8 in lo_16 to f32
_v_mac_f32 v[vgprValuC+140], v6, s[sgprBeta]       // finalSum = sum*alpha + C*beta
_v_mac_f32 v[vgprValuC+141], v7, s[sgprBeta]       // finalSum = sum*alpha + C*beta
V_cvt_pk_f32_bf8 v[6:7], v111  src0_sel:WORD_1  // convert two f8 in hi_16 to f32
_v_mac_f32 v[vgprValuC+142], v6, s[sgprBeta]       // finalSum = sum*alpha + C*beta
_v_mac_f32 v[vgprValuC+143], v7, s[sgprBeta]       // finalSum = sum*alpha + C*beta
v_cmp_class_f32 s[54:55], v[vgprValuC+136], v10    // check NaN and +/-INF
v_med3_f32 v6, v[vgprValuC+136], v8, v9            // Clipping f32 value if exceeds the limit
v_cndmask_b32 v6, v6, v[vgprValuC+136], s[54:55]   // 
v_cmp_class_f32 s[54:55], v[vgprValuC+137], v10    // check NaN and +/-INF
v_med3_f32 v7, v[vgprValuC+137], v8, v9            // Clipping f32 value if exceeds the limit
v_cndmask_b32 v7, v7, v[vgprValuC+137], s[54:55]   // 
v_cvt_pk_bf8_f32  v136, v6, v7 op_sel:[0,0,0]      // convert two f32 accumulated values to fp8 and save it to lo_16[0:15]
v_cmp_class_f32 s[54:55], v[vgprValuC+138], v10    // check NaN and +/-INF
v_med3_f32 v6, v[vgprValuC+138], v8, v9            // Clipping f32 value if exceeds the limit
v_cndmask_b32 v6, v6, v[vgprValuC+138], s[54:55]   // 
v_cmp_class_f32 s[54:55], v[vgprValuC+139], v10    // check NaN and +/-INF
v_med3_f32 v7, v[vgprValuC+139], v8, v9            // Clipping f32 value if exceeds the limit
v_cndmask_b32 v7, v7, v[vgprValuC+139], s[54:55]   // 
v_cvt_pk_bf8_f32  v136, v6, v7 op_sel:[0,0,1]      // convert two f32 accumulated values to fp8 and save it to hi_16[16:31]
v_cmp_class_f32 s[54:55], v[vgprValuC+140], v10    // check NaN and +/-INF
v_med3_f32 v6, v[vgprValuC+140], v8, v9            // Clipping f32 value if exceeds the limit
v_cndmask_b32 v6, v6, v[vgprValuC+140], s[54:55]   // 
v_cmp_class_f32 s[54:55], v[vgprValuC+141], v10    // check NaN and +/-INF
v_med3_f32 v7, v[vgprValuC+141], v8, v9            // Clipping f32 value if exceeds the limit
v_cndmask_b32 v7, v7, v[vgprValuC+141], s[54:55]   // 
v_cvt_pk_bf8_f32  v137, v6, v7 op_sel:[0,0,0]      // convert two f32 accumulated values to fp8 and save it to lo_16[0:15]
v_cmp_class_f32 s[54:55], v[vgprValuC+142], v10    // check NaN and +/-INF
v_med3_f32 v6, v[vgprValuC+142], v8, v9            // Clipping f32 value if exceeds the limit
v_cndmask_b32 v6, v6, v[vgprValuC+142], s[54:55]   // 
v_cmp_class_f32 s[54:55], v[vgprValuC+143], v10    // check NaN and +/-INF
v_med3_f32 v7, v[vgprValuC+143], v8, v9            // Clipping f32 value if exceeds the limit
v_cndmask_b32 v7, v7, v[vgprValuC+143], s[54:55]   // 
v_cvt_pk_bf8_f32  v137, v6, v7 op_sel:[0,0,1]      // convert two f32 accumulated values to fp8 and save it to hi_16[16:31]
s_mul_i32 s54, s[sgprStrideD1J], 29                // scale StrideD *= numRows(29) * bpe
s_add_u32  s[sgprSrdD+0], s[sgprSrdD+0], s54       // incToNextRow: gra SRD += inc(lower)
s_addc_u32  s[sgprSrdD+1], s[sgprSrdD+1], 0        // incToNextRow: gra SRD += inc(upper)
_buffer_store_b64 v[136:137], v11, s[sgprSrdD:sgprSrdD+3], 0, offen, offset:0,  sc0 sc1 // store D

s_waitcnt vmcnt(21)                                // wait C (interleaved) 21 = 22 - 13 + 13 - 1
V_cvt_pk_f32_bf8 v[6:7], v144    // convert two f8 in lo_16 to f32
_v_mac_f32 v[vgprValuC+152], v6, s[sgprBeta]       // finalSum = sum*alpha + C*beta
_v_mac_f32 v[vgprValuC+153], v7, s[sgprBeta]       // finalSum = sum*alpha + C*beta
V_cvt_pk_f32_bf8 v[6:7], v144  src0_sel:WORD_1  // convert two f8 in hi_16 to f32
_v_mac_f32 v[vgprValuC+154], v6, s[sgprBeta]       // finalSum = sum*alpha + C*beta
_v_mac_f32 v[vgprValuC+155], v7, s[sgprBeta]       // finalSum = sum*alpha + C*beta
V_cvt_pk_f32_bf8 v[6:7], v145    // convert two f8 in lo_16 to f32
_v_mac_f32 v[vgprValuC+156], v6, s[sgprBeta]       // finalSum = sum*alpha + C*beta
_v_mac_f32 v[vgprValuC+157], v7, s[sgprBeta]       // finalSum = sum*alpha + C*beta
V_cvt_pk_f32_bf8 v[6:7], v145  src0_sel:WORD_1  // convert two f8 in hi_16 to f32
_v_mac_f32 v[vgprValuC+158], v6, s[sgprBeta]       // finalSum = sum*alpha + C*beta
_v_mac_f32 v[vgprValuC+159], v7, s[sgprBeta]       // finalSum = sum*alpha + C*beta
v_cmp_class_f32 s[54:55], v[vgprValuC+152], v10    // check NaN and +/-INF
v_med3_f32 v6, v[vgprValuC+152], v8, v9            // Clipping f32 value if exceeds the limit
v_cndmask_b32 v6, v6, v[vgprValuC+152], s[54:55]   // 
v_cmp_class_f32 s[54:55], v[vgprValuC+153], v10    // check NaN and +/-INF
v_med3_f32 v7, v[vgprValuC+153], v8, v9            // Clipping f32 value if exceeds the limit
v_cndmask_b32 v7, v7, v[vgprValuC+153], s[54:55]   // 
v_cvt_pk_bf8_f32  v152, v6, v7 op_sel:[0,0,0]      // convert two f32 accumulated values to fp8 and save it to lo_16[0:15]
v_cmp_class_f32 s[54:55], v[vgprValuC+154], v10    // check NaN and +/-INF
v_med3_f32 v6, v[vgprValuC+154], v8, v9            // Clipping f32 value if exceeds the limit
v_cndmask_b32 v6, v6, v[vgprValuC+154], s[54:55]   // 
v_cmp_class_f32 s[54:55], v[vgprValuC+155], v10    // check NaN and +/-INF
v_med3_f32 v7, v[vgprValuC+155], v8, v9            // Clipping f32 value if exceeds the limit
v_cndmask_b32 v7, v7, v[vgprValuC+155], s[54:55]   // 
v_cvt_pk_bf8_f32  v152, v6, v7 op_sel:[0,0,1]      // convert two f32 accumulated values to fp8 and save it to hi_16[16:31]
v_cmp_class_f32 s[54:55], v[vgprValuC+156], v10    // check NaN and +/-INF
v_med3_f32 v6, v[vgprValuC+156], v8, v9            // Clipping f32 value if exceeds the limit
v_cndmask_b32 v6, v6, v[vgprValuC+156], s[54:55]   // 
v_cmp_class_f32 s[54:55], v[vgprValuC+157], v10    // check NaN and +/-INF
v_med3_f32 v7, v[vgprValuC+157], v8, v9            // Clipping f32 value if exceeds the limit
v_cndmask_b32 v7, v7, v[vgprValuC+157], s[54:55]   // 
v_cvt_pk_bf8_f32  v153, v6, v7 op_sel:[0,0,0]      // convert two f32 accumulated values to fp8 and save it to lo_16[0:15]
v_cmp_class_f32 s[54:55], v[vgprValuC+158], v10    // check NaN and +/-INF
v_med3_f32 v6, v[vgprValuC+158], v8, v9            // Clipping f32 value if exceeds the limit
v_cndmask_b32 v6, v6, v[vgprValuC+158], s[54:55]   // 
v_cmp_class_f32 s[54:55], v[vgprValuC+159], v10    // check NaN and +/-INF
v_med3_f32 v7, v[vgprValuC+159], v8, v9            // Clipping f32 value if exceeds the limit
v_cndmask_b32 v7, v7, v[vgprValuC+159], s[54:55]   // 
v_cvt_pk_bf8_f32  v153, v6, v7 op_sel:[0,0,1]      // convert two f32 accumulated values to fp8 and save it to hi_16[16:31]
s_lshl_b32  s54, s[sgprStrideD1J], 0               // incToNextRow: Scale by BPE
s_add_u32  s[sgprSrdD+0], s[sgprSrdD+0], s54       // incToNextRow: gra SRD += inc(lower)
s_addc_u32  s[sgprSrdD+1], s[sgprSrdD+1], 0        // incToNextRow: gra SRD += inc(upper)
_buffer_store_b64 v[152:153], v11, s[sgprSrdD:sgprSrdD+3], 0, offen, offset:0,  sc0 sc1 // store D

s_waitcnt vmcnt(21)                                // wait C (interleaved) 21 = 22 - 14 + 14 - 1
V_cvt_pk_f32_bf8 v[6:7], v146    // convert two f8 in lo_16 to f32
_v_mac_f32 v[vgprValuC+160], v6, s[sgprBeta]       // finalSum = sum*alpha + C*beta
_v_mac_f32 v[vgprValuC+161], v7, s[sgprBeta]       // finalSum = sum*alpha + C*beta
V_cvt_pk_f32_bf8 v[6:7], v146  src0_sel:WORD_1  // convert two f8 in hi_16 to f32
_v_mac_f32 v[vgprValuC+162], v6, s[sgprBeta]       // finalSum = sum*alpha + C*beta
_v_mac_f32 v[vgprValuC+163], v7, s[sgprBeta]       // finalSum = sum*alpha + C*beta
V_cvt_pk_f32_bf8 v[6:7], v147    // convert two f8 in lo_16 to f32
_v_mac_f32 v[vgprValuC+164], v6, s[sgprBeta]       // finalSum = sum*alpha + C*beta
_v_mac_f32 v[vgprValuC+165], v7, s[sgprBeta]       // finalSum = sum*alpha + C*beta
V_cvt_pk_f32_bf8 v[6:7], v147  src0_sel:WORD_1  // convert two f8 in hi_16 to f32
_v_mac_f32 v[vgprValuC+166], v6, s[sgprBeta]       // finalSum = sum*alpha + C*beta
_v_mac_f32 v[vgprValuC+167], v7, s[sgprBeta]       // finalSum = sum*alpha + C*beta
v_cmp_class_f32 s[54:55], v[vgprValuC+160], v10    // check NaN and +/-INF
v_med3_f32 v6, v[vgprValuC+160], v8, v9            // Clipping f32 value if exceeds the limit
v_cndmask_b32 v6, v6, v[vgprValuC+160], s[54:55]   // 
v_cmp_class_f32 s[54:55], v[vgprValuC+161], v10    // check NaN and +/-INF
v_med3_f32 v7, v[vgprValuC+161], v8, v9            // Clipping f32 value if exceeds the limit
v_cndmask_b32 v7, v7, v[vgprValuC+161], s[54:55]   // 
v_cvt_pk_bf8_f32  v160, v6, v7 op_sel:[0,0,0]      // convert two f32 accumulated values to fp8 and save it to lo_16[0:15]
v_cmp_class_f32 s[54:55], v[vgprValuC+162], v10    // check NaN and +/-INF
v_med3_f32 v6, v[vgprValuC+162], v8, v9            // Clipping f32 value if exceeds the limit
v_cndmask_b32 v6, v6, v[vgprValuC+162], s[54:55]   // 
v_cmp_class_f32 s[54:55], v[vgprValuC+163], v10    // check NaN and +/-INF
v_med3_f32 v7, v[vgprValuC+163], v8, v9            // Clipping f32 value if exceeds the limit
v_cndmask_b32 v7, v7, v[vgprValuC+163], s[54:55]   // 
v_cvt_pk_bf8_f32  v160, v6, v7 op_sel:[0,0,1]      // convert two f32 accumulated values to fp8 and save it to hi_16[16:31]
v_cmp_class_f32 s[54:55], v[vgprValuC+164], v10    // check NaN and +/-INF
v_med3_f32 v6, v[vgprValuC+164], v8, v9            // Clipping f32 value if exceeds the limit
v_cndmask_b32 v6, v6, v[vgprValuC+164], s[54:55]   // 
v_cmp_class_f32 s[54:55], v[vgprValuC+165], v10    // check NaN and +/-INF
v_med3_f32 v7, v[vgprValuC+165], v8, v9            // Clipping f32 value if exceeds the limit
v_cndmask_b32 v7, v7, v[vgprValuC+165], s[54:55]   // 
v_cvt_pk_bf8_f32  v161, v6, v7 op_sel:[0,0,0]      // convert two f32 accumulated values to fp8 and save it to lo_16[0:15]
v_cmp_class_f32 s[54:55], v[vgprValuC+166], v10    // check NaN and +/-INF
v_med3_f32 v6, v[vgprValuC+166], v8, v9            // Clipping f32 value if exceeds the limit
v_cndmask_b32 v6, v6, v[vgprValuC+166], s[54:55]   // 
v_cmp_class_f32 s[54:55], v[vgprValuC+167], v10    // check NaN and +/-INF
v_med3_f32 v7, v[vgprValuC+167], v8, v9            // Clipping f32 value if exceeds the limit
v_cndmask_b32 v7, v7, v[vgprValuC+167], s[54:55]   // 
v_cvt_pk_bf8_f32  v161, v6, v7 op_sel:[0,0,1]      // convert two f32 accumulated values to fp8 and save it to hi_16[16:31]
s_lshl_b32  s54, s[sgprStrideD1J], 0               // incToNextRow: Scale by BPE
	;; [unrolled: 46-line block ×3, first 2 shown]
s_add_u32  s[sgprSrdD+0], s[sgprSrdD+0], s54       // incToNextRow: gra SRD += inc(lower)
s_addc_u32  s[sgprSrdD+1], s[sgprSrdD+1], 0        // incToNextRow: gra SRD += inc(upper)
_buffer_store_b64 v[168:169], v11, s[sgprSrdD:sgprSrdD+3], 0, offen, offset:0,  sc0 sc1 // store D

s_waitcnt vmcnt(21)                                // wait C (interleaved) 21 = 22 - 16 + 16 - 1
V_cvt_pk_f32_bf8 v[6:7], v150    // convert two f8 in lo_16 to f32
_v_mac_f32 v[vgprValuC+176], v6, s[sgprBeta]       // finalSum = sum*alpha + C*beta
_v_mac_f32 v[vgprValuC+177], v7, s[sgprBeta]       // finalSum = sum*alpha + C*beta
V_cvt_pk_f32_bf8 v[6:7], v150  src0_sel:WORD_1  // convert two f8 in hi_16 to f32
_v_mac_f32 v[vgprValuC+178], v6, s[sgprBeta]       // finalSum = sum*alpha + C*beta
_v_mac_f32 v[vgprValuC+179], v7, s[sgprBeta]       // finalSum = sum*alpha + C*beta
V_cvt_pk_f32_bf8 v[6:7], v151    // convert two f8 in lo_16 to f32
_v_mac_f32 v[vgprValuC+180], v6, s[sgprBeta]       // finalSum = sum*alpha + C*beta
_v_mac_f32 v[vgprValuC+181], v7, s[sgprBeta]       // finalSum = sum*alpha + C*beta
V_cvt_pk_f32_bf8 v[6:7], v151  src0_sel:WORD_1  // convert two f8 in hi_16 to f32
_v_mac_f32 v[vgprValuC+182], v6, s[sgprBeta]       // finalSum = sum*alpha + C*beta
_v_mac_f32 v[vgprValuC+183], v7, s[sgprBeta]       // finalSum = sum*alpha + C*beta
v_cmp_class_f32 s[54:55], v[vgprValuC+176], v10    // check NaN and +/-INF
v_med3_f32 v6, v[vgprValuC+176], v8, v9            // Clipping f32 value if exceeds the limit
v_cndmask_b32 v6, v6, v[vgprValuC+176], s[54:55]   // 
v_cmp_class_f32 s[54:55], v[vgprValuC+177], v10    // check NaN and +/-INF
v_med3_f32 v7, v[vgprValuC+177], v8, v9            // Clipping f32 value if exceeds the limit
v_cndmask_b32 v7, v7, v[vgprValuC+177], s[54:55]   // 
v_cvt_pk_bf8_f32  v176, v6, v7 op_sel:[0,0,0]      // convert two f32 accumulated values to fp8 and save it to lo_16[0:15]
v_cmp_class_f32 s[54:55], v[vgprValuC+178], v10    // check NaN and +/-INF
v_med3_f32 v6, v[vgprValuC+178], v8, v9            // Clipping f32 value if exceeds the limit
v_cndmask_b32 v6, v6, v[vgprValuC+178], s[54:55]   // 
v_cmp_class_f32 s[54:55], v[vgprValuC+179], v10    // check NaN and +/-INF
v_med3_f32 v7, v[vgprValuC+179], v8, v9            // Clipping f32 value if exceeds the limit
v_cndmask_b32 v7, v7, v[vgprValuC+179], s[54:55]   // 
v_cvt_pk_bf8_f32  v176, v6, v7 op_sel:[0,0,1]      // convert two f32 accumulated values to fp8 and save it to hi_16[16:31]
v_cmp_class_f32 s[54:55], v[vgprValuC+180], v10    // check NaN and +/-INF
v_med3_f32 v6, v[vgprValuC+180], v8, v9            // Clipping f32 value if exceeds the limit
v_cndmask_b32 v6, v6, v[vgprValuC+180], s[54:55]   // 
v_cmp_class_f32 s[54:55], v[vgprValuC+181], v10    // check NaN and +/-INF
v_med3_f32 v7, v[vgprValuC+181], v8, v9            // Clipping f32 value if exceeds the limit
v_cndmask_b32 v7, v7, v[vgprValuC+181], s[54:55]   // 
v_cvt_pk_bf8_f32  v177, v6, v7 op_sel:[0,0,0]      // convert two f32 accumulated values to fp8 and save it to lo_16[0:15]
v_cmp_class_f32 s[54:55], v[vgprValuC+182], v10    // check NaN and +/-INF
v_med3_f32 v6, v[vgprValuC+182], v8, v9            // Clipping f32 value if exceeds the limit
v_cndmask_b32 v6, v6, v[vgprValuC+182], s[54:55]   // 
v_cmp_class_f32 s[54:55], v[vgprValuC+183], v10    // check NaN and +/-INF
v_med3_f32 v7, v[vgprValuC+183], v8, v9            // Clipping f32 value if exceeds the limit
v_cndmask_b32 v7, v7, v[vgprValuC+183], s[54:55]   // 
v_cvt_pk_bf8_f32  v177, v6, v7 op_sel:[0,0,1]      // convert two f32 accumulated values to fp8 and save it to hi_16[16:31]
s_mul_i32 s54, s[sgprStrideD1J], 29                // scale StrideD *= numRows(29) * bpe
s_add_u32  s[sgprSrdD+0], s[sgprSrdD+0], s54       // incToNextRow: gra SRD += inc(lower)
s_addc_u32  s[sgprSrdD+1], s[sgprSrdD+1], 0        // incToNextRow: gra SRD += inc(upper)
_buffer_store_b64 v[176:177], v11, s[sgprSrdD:sgprSrdD+3], 0, offen, offset:0,  sc0 sc1 // store D

s_waitcnt vmcnt(21)                                // wait C (interleaved) 21 = 22 - 17 + 17 - 1
V_cvt_pk_f32_bf8 v[6:7], v184    // convert two f8 in lo_16 to f32
_v_mac_f32 v[vgprValuC+192], v6, s[sgprBeta]       // finalSum = sum*alpha + C*beta
_v_mac_f32 v[vgprValuC+193], v7, s[sgprBeta]       // finalSum = sum*alpha + C*beta
V_cvt_pk_f32_bf8 v[6:7], v184  src0_sel:WORD_1  // convert two f8 in hi_16 to f32
_v_mac_f32 v[vgprValuC+194], v6, s[sgprBeta]       // finalSum = sum*alpha + C*beta
_v_mac_f32 v[vgprValuC+195], v7, s[sgprBeta]       // finalSum = sum*alpha + C*beta
V_cvt_pk_f32_bf8 v[6:7], v185    // convert two f8 in lo_16 to f32
_v_mac_f32 v[vgprValuC+196], v6, s[sgprBeta]       // finalSum = sum*alpha + C*beta
_v_mac_f32 v[vgprValuC+197], v7, s[sgprBeta]       // finalSum = sum*alpha + C*beta
V_cvt_pk_f32_bf8 v[6:7], v185  src0_sel:WORD_1  // convert two f8 in hi_16 to f32
_v_mac_f32 v[vgprValuC+198], v6, s[sgprBeta]       // finalSum = sum*alpha + C*beta
_v_mac_f32 v[vgprValuC+199], v7, s[sgprBeta]       // finalSum = sum*alpha + C*beta
v_cmp_class_f32 s[54:55], v[vgprValuC+192], v10    // check NaN and +/-INF
v_med3_f32 v6, v[vgprValuC+192], v8, v9            // Clipping f32 value if exceeds the limit
v_cndmask_b32 v6, v6, v[vgprValuC+192], s[54:55]   // 
v_cmp_class_f32 s[54:55], v[vgprValuC+193], v10    // check NaN and +/-INF
v_med3_f32 v7, v[vgprValuC+193], v8, v9            // Clipping f32 value if exceeds the limit
v_cndmask_b32 v7, v7, v[vgprValuC+193], s[54:55]   // 
v_cvt_pk_bf8_f32  v192, v6, v7 op_sel:[0,0,0]      // convert two f32 accumulated values to fp8 and save it to lo_16[0:15]
v_cmp_class_f32 s[54:55], v[vgprValuC+194], v10    // check NaN and +/-INF
v_med3_f32 v6, v[vgprValuC+194], v8, v9            // Clipping f32 value if exceeds the limit
v_cndmask_b32 v6, v6, v[vgprValuC+194], s[54:55]   // 
v_cmp_class_f32 s[54:55], v[vgprValuC+195], v10    // check NaN and +/-INF
v_med3_f32 v7, v[vgprValuC+195], v8, v9            // Clipping f32 value if exceeds the limit
v_cndmask_b32 v7, v7, v[vgprValuC+195], s[54:55]   // 
v_cvt_pk_bf8_f32  v192, v6, v7 op_sel:[0,0,1]      // convert two f32 accumulated values to fp8 and save it to hi_16[16:31]
v_cmp_class_f32 s[54:55], v[vgprValuC+196], v10    // check NaN and +/-INF
v_med3_f32 v6, v[vgprValuC+196], v8, v9            // Clipping f32 value if exceeds the limit
v_cndmask_b32 v6, v6, v[vgprValuC+196], s[54:55]   // 
v_cmp_class_f32 s[54:55], v[vgprValuC+197], v10    // check NaN and +/-INF
v_med3_f32 v7, v[vgprValuC+197], v8, v9            // Clipping f32 value if exceeds the limit
v_cndmask_b32 v7, v7, v[vgprValuC+197], s[54:55]   // 
v_cvt_pk_bf8_f32  v193, v6, v7 op_sel:[0,0,0]      // convert two f32 accumulated values to fp8 and save it to lo_16[0:15]
v_cmp_class_f32 s[54:55], v[vgprValuC+198], v10    // check NaN and +/-INF
v_med3_f32 v6, v[vgprValuC+198], v8, v9            // Clipping f32 value if exceeds the limit
v_cndmask_b32 v6, v6, v[vgprValuC+198], s[54:55]   // 
v_cmp_class_f32 s[54:55], v[vgprValuC+199], v10    // check NaN and +/-INF
v_med3_f32 v7, v[vgprValuC+199], v8, v9            // Clipping f32 value if exceeds the limit
v_cndmask_b32 v7, v7, v[vgprValuC+199], s[54:55]   // 
v_cvt_pk_bf8_f32  v193, v6, v7 op_sel:[0,0,1]      // convert two f32 accumulated values to fp8 and save it to hi_16[16:31]
s_lshl_b32  s54, s[sgprStrideD1J], 0               // incToNextRow: Scale by BPE
s_add_u32  s[sgprSrdD+0], s[sgprSrdD+0], s54       // incToNextRow: gra SRD += inc(lower)
s_addc_u32  s[sgprSrdD+1], s[sgprSrdD+1], 0        // incToNextRow: gra SRD += inc(upper)
_buffer_store_b64 v[192:193], v11, s[sgprSrdD:sgprSrdD+3], 0, offen, offset:0,  sc0 sc1 // store D

s_waitcnt vmcnt(21)                                // wait C (interleaved) 21 = 22 - 18 + 18 - 1
V_cvt_pk_f32_bf8 v[6:7], v186    // convert two f8 in lo_16 to f32
_v_mac_f32 v[vgprValuC+200], v6, s[sgprBeta]       // finalSum = sum*alpha + C*beta
_v_mac_f32 v[vgprValuC+201], v7, s[sgprBeta]       // finalSum = sum*alpha + C*beta
V_cvt_pk_f32_bf8 v[6:7], v186  src0_sel:WORD_1  // convert two f8 in hi_16 to f32
_v_mac_f32 v[vgprValuC+202], v6, s[sgprBeta]       // finalSum = sum*alpha + C*beta
_v_mac_f32 v[vgprValuC+203], v7, s[sgprBeta]       // finalSum = sum*alpha + C*beta
V_cvt_pk_f32_bf8 v[6:7], v187    // convert two f8 in lo_16 to f32
_v_mac_f32 v[vgprValuC+204], v6, s[sgprBeta]       // finalSum = sum*alpha + C*beta
_v_mac_f32 v[vgprValuC+205], v7, s[sgprBeta]       // finalSum = sum*alpha + C*beta
V_cvt_pk_f32_bf8 v[6:7], v187  src0_sel:WORD_1  // convert two f8 in hi_16 to f32
_v_mac_f32 v[vgprValuC+206], v6, s[sgprBeta]       // finalSum = sum*alpha + C*beta
_v_mac_f32 v[vgprValuC+207], v7, s[sgprBeta]       // finalSum = sum*alpha + C*beta
v_cmp_class_f32 s[54:55], v[vgprValuC+200], v10    // check NaN and +/-INF
v_med3_f32 v6, v[vgprValuC+200], v8, v9            // Clipping f32 value if exceeds the limit
v_cndmask_b32 v6, v6, v[vgprValuC+200], s[54:55]   // 
v_cmp_class_f32 s[54:55], v[vgprValuC+201], v10    // check NaN and +/-INF
v_med3_f32 v7, v[vgprValuC+201], v8, v9            // Clipping f32 value if exceeds the limit
v_cndmask_b32 v7, v7, v[vgprValuC+201], s[54:55]   // 
v_cvt_pk_bf8_f32  v200, v6, v7 op_sel:[0,0,0]      // convert two f32 accumulated values to fp8 and save it to lo_16[0:15]
v_cmp_class_f32 s[54:55], v[vgprValuC+202], v10    // check NaN and +/-INF
v_med3_f32 v6, v[vgprValuC+202], v8, v9            // Clipping f32 value if exceeds the limit
v_cndmask_b32 v6, v6, v[vgprValuC+202], s[54:55]   // 
v_cmp_class_f32 s[54:55], v[vgprValuC+203], v10    // check NaN and +/-INF
v_med3_f32 v7, v[vgprValuC+203], v8, v9            // Clipping f32 value if exceeds the limit
v_cndmask_b32 v7, v7, v[vgprValuC+203], s[54:55]   // 
v_cvt_pk_bf8_f32  v200, v6, v7 op_sel:[0,0,1]      // convert two f32 accumulated values to fp8 and save it to hi_16[16:31]
v_cmp_class_f32 s[54:55], v[vgprValuC+204], v10    // check NaN and +/-INF
v_med3_f32 v6, v[vgprValuC+204], v8, v9            // Clipping f32 value if exceeds the limit
v_cndmask_b32 v6, v6, v[vgprValuC+204], s[54:55]   // 
v_cmp_class_f32 s[54:55], v[vgprValuC+205], v10    // check NaN and +/-INF
v_med3_f32 v7, v[vgprValuC+205], v8, v9            // Clipping f32 value if exceeds the limit
v_cndmask_b32 v7, v7, v[vgprValuC+205], s[54:55]   // 
v_cvt_pk_bf8_f32  v201, v6, v7 op_sel:[0,0,0]      // convert two f32 accumulated values to fp8 and save it to lo_16[0:15]
v_cmp_class_f32 s[54:55], v[vgprValuC+206], v10    // check NaN and +/-INF
v_med3_f32 v6, v[vgprValuC+206], v8, v9            // Clipping f32 value if exceeds the limit
v_cndmask_b32 v6, v6, v[vgprValuC+206], s[54:55]   // 
v_cmp_class_f32 s[54:55], v[vgprValuC+207], v10    // check NaN and +/-INF
v_med3_f32 v7, v[vgprValuC+207], v8, v9            // Clipping f32 value if exceeds the limit
v_cndmask_b32 v7, v7, v[vgprValuC+207], s[54:55]   // 
v_cvt_pk_bf8_f32  v201, v6, v7 op_sel:[0,0,1]      // convert two f32 accumulated values to fp8 and save it to hi_16[16:31]
s_lshl_b32  s54, s[sgprStrideD1J], 0               // incToNextRow: Scale by BPE
s_add_u32  s[sgprSrdD+0], s[sgprSrdD+0], s54       // incToNextRow: gra SRD += inc(lower)
s_addc_u32  s[sgprSrdD+1], s[sgprSrdD+1], 0        // incToNextRow: gra SRD += inc(upper)
_buffer_store_b64 v[200:201], v11, s[sgprSrdD:sgprSrdD+3], 0, offen, offset:0,  sc0 sc1 // store D

s_waitcnt vmcnt(21)                                // wait C (interleaved) 21 = 22 - 19 + 19 - 1
V_cvt_pk_f32_bf8 v[6:7], v188    // convert two f8 in lo_16 to f32
_v_mac_f32 v[vgprValuC+208], v6, s[sgprBeta]       // finalSum = sum*alpha + C*beta
_v_mac_f32 v[vgprValuC+209], v7, s[sgprBeta]       // finalSum = sum*alpha + C*beta
V_cvt_pk_f32_bf8 v[6:7], v188  src0_sel:WORD_1  // convert two f8 in hi_16 to f32
_v_mac_f32 v[vgprValuC+210], v6, s[sgprBeta]       // finalSum = sum*alpha + C*beta
_v_mac_f32 v[vgprValuC+211], v7, s[sgprBeta]       // finalSum = sum*alpha + C*beta
V_cvt_pk_f32_bf8 v[6:7], v189    // convert two f8 in lo_16 to f32
_v_mac_f32 v[vgprValuC+212], v6, s[sgprBeta]       // finalSum = sum*alpha + C*beta
_v_mac_f32 v[vgprValuC+213], v7, s[sgprBeta]       // finalSum = sum*alpha + C*beta
V_cvt_pk_f32_bf8 v[6:7], v189  src0_sel:WORD_1  // convert two f8 in hi_16 to f32
_v_mac_f32 v[vgprValuC+214], v6, s[sgprBeta]       // finalSum = sum*alpha + C*beta
_v_mac_f32 v[vgprValuC+215], v7, s[sgprBeta]       // finalSum = sum*alpha + C*beta
v_cmp_class_f32 s[54:55], v[vgprValuC+208], v10    // check NaN and +/-INF
v_med3_f32 v6, v[vgprValuC+208], v8, v9            // Clipping f32 value if exceeds the limit
v_cndmask_b32 v6, v6, v[vgprValuC+208], s[54:55]   // 
v_cmp_class_f32 s[54:55], v[vgprValuC+209], v10    // check NaN and +/-INF
v_med3_f32 v7, v[vgprValuC+209], v8, v9            // Clipping f32 value if exceeds the limit
v_cndmask_b32 v7, v7, v[vgprValuC+209], s[54:55]   // 
v_cvt_pk_bf8_f32  v208, v6, v7 op_sel:[0,0,0]      // convert two f32 accumulated values to fp8 and save it to lo_16[0:15]
v_cmp_class_f32 s[54:55], v[vgprValuC+210], v10    // check NaN and +/-INF
v_med3_f32 v6, v[vgprValuC+210], v8, v9            // Clipping f32 value if exceeds the limit
v_cndmask_b32 v6, v6, v[vgprValuC+210], s[54:55]   // 
v_cmp_class_f32 s[54:55], v[vgprValuC+211], v10    // check NaN and +/-INF
v_med3_f32 v7, v[vgprValuC+211], v8, v9            // Clipping f32 value if exceeds the limit
v_cndmask_b32 v7, v7, v[vgprValuC+211], s[54:55]   // 
v_cvt_pk_bf8_f32  v208, v6, v7 op_sel:[0,0,1]      // convert two f32 accumulated values to fp8 and save it to hi_16[16:31]
v_cmp_class_f32 s[54:55], v[vgprValuC+212], v10    // check NaN and +/-INF
v_med3_f32 v6, v[vgprValuC+212], v8, v9            // Clipping f32 value if exceeds the limit
v_cndmask_b32 v6, v6, v[vgprValuC+212], s[54:55]   // 
v_cmp_class_f32 s[54:55], v[vgprValuC+213], v10    // check NaN and +/-INF
v_med3_f32 v7, v[vgprValuC+213], v8, v9            // Clipping f32 value if exceeds the limit
v_cndmask_b32 v7, v7, v[vgprValuC+213], s[54:55]   // 
v_cvt_pk_bf8_f32  v209, v6, v7 op_sel:[0,0,0]      // convert two f32 accumulated values to fp8 and save it to lo_16[0:15]
v_cmp_class_f32 s[54:55], v[vgprValuC+214], v10    // check NaN and +/-INF
v_med3_f32 v6, v[vgprValuC+214], v8, v9            // Clipping f32 value if exceeds the limit
v_cndmask_b32 v6, v6, v[vgprValuC+214], s[54:55]   // 
v_cmp_class_f32 s[54:55], v[vgprValuC+215], v10    // check NaN and +/-INF
v_med3_f32 v7, v[vgprValuC+215], v8, v9            // Clipping f32 value if exceeds the limit
v_cndmask_b32 v7, v7, v[vgprValuC+215], s[54:55]   // 
v_cvt_pk_bf8_f32  v209, v6, v7 op_sel:[0,0,1]      // convert two f32 accumulated values to fp8 and save it to hi_16[16:31]
s_lshl_b32  s54, s[sgprStrideD1J], 0               // incToNextRow: Scale by BPE
s_add_u32  s[sgprSrdD+0], s[sgprSrdD+0], s54       // incToNextRow: gra SRD += inc(lower)
s_addc_u32  s[sgprSrdD+1], s[sgprSrdD+1], 0        // incToNextRow: gra SRD += inc(upper)
_buffer_store_b64 v[208:209], v11, s[sgprSrdD:sgprSrdD+3], 0, offen, offset:0,  sc0 sc1 // store D

s_waitcnt vmcnt(21)                                // wait C (interleaved) 21 = 22 - 20 + 20 - 1
V_cvt_pk_f32_bf8 v[6:7], v190    // convert two f8 in lo_16 to f32
_v_mac_f32 v[vgprValuC+216], v6, s[sgprBeta]       // finalSum = sum*alpha + C*beta
_v_mac_f32 v[vgprValuC+217], v7, s[sgprBeta]       // finalSum = sum*alpha + C*beta
V_cvt_pk_f32_bf8 v[6:7], v190  src0_sel:WORD_1  // convert two f8 in hi_16 to f32
_v_mac_f32 v[vgprValuC+218], v6, s[sgprBeta]       // finalSum = sum*alpha + C*beta
_v_mac_f32 v[vgprValuC+219], v7, s[sgprBeta]       // finalSum = sum*alpha + C*beta
V_cvt_pk_f32_bf8 v[6:7], v191    // convert two f8 in lo_16 to f32
_v_mac_f32 v[vgprValuC+220], v6, s[sgprBeta]       // finalSum = sum*alpha + C*beta
_v_mac_f32 v[vgprValuC+221], v7, s[sgprBeta]       // finalSum = sum*alpha + C*beta
V_cvt_pk_f32_bf8 v[6:7], v191  src0_sel:WORD_1  // convert two f8 in hi_16 to f32
_v_mac_f32 v[vgprValuC+222], v6, s[sgprBeta]       // finalSum = sum*alpha + C*beta
_v_mac_f32 v[vgprValuC+223], v7, s[sgprBeta]       // finalSum = sum*alpha + C*beta
v_cmp_class_f32 s[54:55], v[vgprValuC+216], v10    // check NaN and +/-INF
v_med3_f32 v6, v[vgprValuC+216], v8, v9            // Clipping f32 value if exceeds the limit
v_cndmask_b32 v6, v6, v[vgprValuC+216], s[54:55]   // 
v_cmp_class_f32 s[54:55], v[vgprValuC+217], v10    // check NaN and +/-INF
v_med3_f32 v7, v[vgprValuC+217], v8, v9            // Clipping f32 value if exceeds the limit
v_cndmask_b32 v7, v7, v[vgprValuC+217], s[54:55]   // 
v_cvt_pk_bf8_f32  v216, v6, v7 op_sel:[0,0,0]      // convert two f32 accumulated values to fp8 and save it to lo_16[0:15]
v_cmp_class_f32 s[54:55], v[vgprValuC+218], v10    // check NaN and +/-INF
v_med3_f32 v6, v[vgprValuC+218], v8, v9            // Clipping f32 value if exceeds the limit
v_cndmask_b32 v6, v6, v[vgprValuC+218], s[54:55]   // 
v_cmp_class_f32 s[54:55], v[vgprValuC+219], v10    // check NaN and +/-INF
v_med3_f32 v7, v[vgprValuC+219], v8, v9            // Clipping f32 value if exceeds the limit
v_cndmask_b32 v7, v7, v[vgprValuC+219], s[54:55]   // 
v_cvt_pk_bf8_f32  v216, v6, v7 op_sel:[0,0,1]      // convert two f32 accumulated values to fp8 and save it to hi_16[16:31]
v_cmp_class_f32 s[54:55], v[vgprValuC+220], v10    // check NaN and +/-INF
v_med3_f32 v6, v[vgprValuC+220], v8, v9            // Clipping f32 value if exceeds the limit
v_cndmask_b32 v6, v6, v[vgprValuC+220], s[54:55]   // 
v_cmp_class_f32 s[54:55], v[vgprValuC+221], v10    // check NaN and +/-INF
v_med3_f32 v7, v[vgprValuC+221], v8, v9            // Clipping f32 value if exceeds the limit
v_cndmask_b32 v7, v7, v[vgprValuC+221], s[54:55]   // 
v_cvt_pk_bf8_f32  v217, v6, v7 op_sel:[0,0,0]      // convert two f32 accumulated values to fp8 and save it to lo_16[0:15]
v_cmp_class_f32 s[54:55], v[vgprValuC+222], v10    // check NaN and +/-INF
v_med3_f32 v6, v[vgprValuC+222], v8, v9            // Clipping f32 value if exceeds the limit
v_cndmask_b32 v6, v6, v[vgprValuC+222], s[54:55]   // 
v_cmp_class_f32 s[54:55], v[vgprValuC+223], v10    // check NaN and +/-INF
v_med3_f32 v7, v[vgprValuC+223], v8, v9            // Clipping f32 value if exceeds the limit
v_cndmask_b32 v7, v7, v[vgprValuC+223], s[54:55]   // 
v_cvt_pk_bf8_f32  v217, v6, v7 op_sel:[0,0,1]      // convert two f32 accumulated values to fp8 and save it to hi_16[16:31]
s_mul_i32 s54, s[sgprStrideD1J], 29                // scale StrideD *= numRows(29) * bpe
s_add_u32  s[sgprSrdD+0], s[sgprSrdD+0], s54       // incToNextRow: gra SRD += inc(lower)
s_addc_u32  s[sgprSrdD+1], s[sgprSrdD+1], 0        // incToNextRow: gra SRD += inc(upper)
_buffer_store_b64 v[216:217], v11, s[sgprSrdD:sgprSrdD+3], 0, offen, offset:0,  sc0 sc1 // store D

s_waitcnt vmcnt(21)                                // wait C (interleaved) 21 = 22 - 21 + 21 - 1
V_cvt_pk_f32_bf8 v[6:7], v224    // convert two f8 in lo_16 to f32
_v_mac_f32 v[vgprValuC+232], v6, s[sgprBeta]       // finalSum = sum*alpha + C*beta
_v_mac_f32 v[vgprValuC+233], v7, s[sgprBeta]       // finalSum = sum*alpha + C*beta
V_cvt_pk_f32_bf8 v[6:7], v224  src0_sel:WORD_1  // convert two f8 in hi_16 to f32
_v_mac_f32 v[vgprValuC+234], v6, s[sgprBeta]       // finalSum = sum*alpha + C*beta
_v_mac_f32 v[vgprValuC+235], v7, s[sgprBeta]       // finalSum = sum*alpha + C*beta
V_cvt_pk_f32_bf8 v[6:7], v225    // convert two f8 in lo_16 to f32
_v_mac_f32 v[vgprValuC+236], v6, s[sgprBeta]       // finalSum = sum*alpha + C*beta
_v_mac_f32 v[vgprValuC+237], v7, s[sgprBeta]       // finalSum = sum*alpha + C*beta
V_cvt_pk_f32_bf8 v[6:7], v225  src0_sel:WORD_1  // convert two f8 in hi_16 to f32
_v_mac_f32 v[vgprValuC+238], v6, s[sgprBeta]       // finalSum = sum*alpha + C*beta
_v_mac_f32 v[vgprValuC+239], v7, s[sgprBeta]       // finalSum = sum*alpha + C*beta
v_cmp_class_f32 s[54:55], v[vgprValuC+232], v10    // check NaN and +/-INF
v_med3_f32 v6, v[vgprValuC+232], v8, v9            // Clipping f32 value if exceeds the limit
v_cndmask_b32 v6, v6, v[vgprValuC+232], s[54:55]   // 
v_cmp_class_f32 s[54:55], v[vgprValuC+233], v10    // check NaN and +/-INF
v_med3_f32 v7, v[vgprValuC+233], v8, v9            // Clipping f32 value if exceeds the limit
v_cndmask_b32 v7, v7, v[vgprValuC+233], s[54:55]   // 
v_cvt_pk_bf8_f32  v232, v6, v7 op_sel:[0,0,0]      // convert two f32 accumulated values to fp8 and save it to lo_16[0:15]
v_cmp_class_f32 s[54:55], v[vgprValuC+234], v10    // check NaN and +/-INF
v_med3_f32 v6, v[vgprValuC+234], v8, v9            // Clipping f32 value if exceeds the limit
v_cndmask_b32 v6, v6, v[vgprValuC+234], s[54:55]   // 
v_cmp_class_f32 s[54:55], v[vgprValuC+235], v10    // check NaN and +/-INF
v_med3_f32 v7, v[vgprValuC+235], v8, v9            // Clipping f32 value if exceeds the limit
v_cndmask_b32 v7, v7, v[vgprValuC+235], s[54:55]   // 
v_cvt_pk_bf8_f32  v232, v6, v7 op_sel:[0,0,1]      // convert two f32 accumulated values to fp8 and save it to hi_16[16:31]
v_cmp_class_f32 s[54:55], v[vgprValuC+236], v10    // check NaN and +/-INF
v_med3_f32 v6, v[vgprValuC+236], v8, v9            // Clipping f32 value if exceeds the limit
v_cndmask_b32 v6, v6, v[vgprValuC+236], s[54:55]   // 
v_cmp_class_f32 s[54:55], v[vgprValuC+237], v10    // check NaN and +/-INF
v_med3_f32 v7, v[vgprValuC+237], v8, v9            // Clipping f32 value if exceeds the limit
v_cndmask_b32 v7, v7, v[vgprValuC+237], s[54:55]   // 
v_cvt_pk_bf8_f32  v233, v6, v7 op_sel:[0,0,0]      // convert two f32 accumulated values to fp8 and save it to lo_16[0:15]
v_cmp_class_f32 s[54:55], v[vgprValuC+238], v10    // check NaN and +/-INF
v_med3_f32 v6, v[vgprValuC+238], v8, v9            // Clipping f32 value if exceeds the limit
v_cndmask_b32 v6, v6, v[vgprValuC+238], s[54:55]   // 
v_cmp_class_f32 s[54:55], v[vgprValuC+239], v10    // check NaN and +/-INF
v_med3_f32 v7, v[vgprValuC+239], v8, v9            // Clipping f32 value if exceeds the limit
v_cndmask_b32 v7, v7, v[vgprValuC+239], s[54:55]   // 
v_cvt_pk_bf8_f32  v233, v6, v7 op_sel:[0,0,1]      // convert two f32 accumulated values to fp8 and save it to hi_16[16:31]
s_lshl_b32  s54, s[sgprStrideD1J], 0               // incToNextRow: Scale by BPE
s_add_u32  s[sgprSrdD+0], s[sgprSrdD+0], s54       // incToNextRow: gra SRD += inc(lower)
s_addc_u32  s[sgprSrdD+1], s[sgprSrdD+1], 0        // incToNextRow: gra SRD += inc(upper)
_buffer_store_b64 v[232:233], v11, s[sgprSrdD:sgprSrdD+3], 0, offen, offset:0,  sc0 sc1 // store D
s_nop 0                                            // 1 wait state required when next inst writes vgprs held by previous dwordx4 store inst
/* optSingleColVgpr=1 optSharedColVgpr=0 optSGPRUsage=BufferLoad_Mask optSrdIncForRow=1 */

/******************************************/
/* Global Write Alpha Beta Batch #1 (d1,d0,vc1,vc0) = */
/*    (5,0,2,0:vw8); (5,0,3,0:vw8); (6,0,0,0:vw8); (6,0,1,0:vw8); (6,0,2,0:vw8); (6,0,3,0:vw8) */
/******************************************/

/* calc coords, apply mask, and issue loads (if necessary) */
/* (d1,vc1,d0,vc0)=(5,2,0,0) */
s_lshl_b32  s54, s[sgprStrideC1J], 0               // incToNextRow: Scale by BPE
s_add_u32  s[sgprSrdC+0], s[sgprSrdC+0], s54       // incToNextRow: gra SRD += inc(lower)
s_addc_u32  s[sgprSrdC+1], s[sgprSrdC+1], 0        // incToNextRow: gra SRD += inc(upper)
_buffer_load_b64 v[14:15], v12, s[sgprSrdC:sgprSrdC+3], 0, offen offset:0,  sc0 sc1 // load C for beta calc
/* (d1,vc1,d0,vc0)=(5,3,0,0) */
s_lshl_b32  s54, s[sgprStrideC1J], 0               // incToNextRow: Scale by BPE
s_add_u32  s[sgprSrdC+0], s[sgprSrdC+0], s54       // incToNextRow: gra SRD += inc(lower)
s_addc_u32  s[sgprSrdC+1], s[sgprSrdC+1], 0        // incToNextRow: gra SRD += inc(upper)
_buffer_load_b64 v[24:25], v12, s[sgprSrdC:sgprSrdC+3], 0, offen offset:0,  sc0 sc1 // load C for beta calc
/* (d1,vc1,d0,vc0)=(6,0,0,0) */
s_mul_i32 s54, s[sgprStrideC1J], 29                // scale StrideC *= numRows(29) * bpe
s_add_u32  s[sgprSrdC+0], s[sgprSrdC+0], s54       // incToNextRow: gra SRD += inc(lower)
s_addc_u32  s[sgprSrdC+1], s[sgprSrdC+1], 0        // incToNextRow: gra SRD += inc(upper)
_buffer_load_b64 v[26:27], v12, s[sgprSrdC:sgprSrdC+3], 0, offen offset:0,  sc0 sc1 // load C for beta calc
/* (d1,vc1,d0,vc0)=(6,1,0,0) */
s_lshl_b32  s54, s[sgprStrideC1J], 0               // incToNextRow: Scale by BPE
s_add_u32  s[sgprSrdC+0], s[sgprSrdC+0], s54       // incToNextRow: gra SRD += inc(lower)
s_addc_u32  s[sgprSrdC+1], s[sgprSrdC+1], 0        // incToNextRow: gra SRD += inc(upper)
_buffer_load_b64 v[28:29], v12, s[sgprSrdC:sgprSrdC+3], 0, offen offset:0,  sc0 sc1 // load C for beta calc
/* (d1,vc1,d0,vc0)=(6,2,0,0) */
s_lshl_b32  s54, s[sgprStrideC1J], 0               // incToNextRow: Scale by BPE
	;; [unrolled: 5-line block ×3, first 2 shown]
s_add_u32  s[sgprSrdC+0], s[sgprSrdC+0], s54       // incToNextRow: gra SRD += inc(lower)
s_addc_u32  s[sgprSrdC+1], s[sgprSrdC+1], 0        // incToNextRow: gra SRD += inc(upper)
_buffer_load_b64 v[64:65], v12, s[sgprSrdC:sgprSrdC+3], 0, offen offset:0,  sc0 sc1 // load C for beta calc
v_accvgpr_read_b32 v[vgprValuC+16], acc162 // copy acc to vreg[176]
v_accvgpr_read_b32 v[vgprValuC+17], acc166 // copy acc to vreg[177]
v_accvgpr_read_b32 v[vgprValuC+18], acc170 // copy acc to vreg[178]
v_accvgpr_read_b32 v[vgprValuC+19], acc174 // copy acc to vreg[179]
v_accvgpr_read_b32 v[vgprValuC+20], acc178 // copy acc to vreg[180]
v_accvgpr_read_b32 v[vgprValuC+21], acc182 // copy acc to vreg[181]
v_accvgpr_read_b32 v[vgprValuC+22], acc186 // copy acc to vreg[182]
v_accvgpr_read_b32 v[vgprValuC+23], acc190 // copy acc to vreg[183]
v_accvgpr_read_b32 v[vgprValuC+32], acc163 // copy acc to vreg[184]
v_accvgpr_read_b32 v[vgprValuC+33], acc167 // copy acc to vreg[185]
v_accvgpr_read_b32 v[vgprValuC+34], acc171 // copy acc to vreg[186]
v_accvgpr_read_b32 v[vgprValuC+35], acc175 // copy acc to vreg[187]
v_accvgpr_read_b32 v[vgprValuC+36], acc179 // copy acc to vreg[188]
v_accvgpr_read_b32 v[vgprValuC+37], acc183 // copy acc to vreg[189]
v_accvgpr_read_b32 v[vgprValuC+38], acc187 // copy acc to vreg[190]
v_accvgpr_read_b32 v[vgprValuC+39], acc191 // copy acc to vreg[191]
v_accvgpr_read_b32 v[vgprValuC+40], acc192 // copy acc to vreg[192]
v_accvgpr_read_b32 v[vgprValuC+41], acc196 // copy acc to vreg[193]
v_accvgpr_read_b32 v[vgprValuC+42], acc200 // copy acc to vreg[194]
v_accvgpr_read_b32 v[vgprValuC+43], acc204 // copy acc to vreg[195]
v_accvgpr_read_b32 v[vgprValuC+44], acc208 // copy acc to vreg[196]
v_accvgpr_read_b32 v[vgprValuC+45], acc212 // copy acc to vreg[197]
v_accvgpr_read_b32 v[vgprValuC+46], acc216 // copy acc to vreg[198]
v_accvgpr_read_b32 v[vgprValuC+47], acc220 // copy acc to vreg[199]
v_accvgpr_read_b32 v[vgprValuC+48], acc193 // copy acc to vreg[200]
v_accvgpr_read_b32 v[vgprValuC+49], acc197 // copy acc to vreg[201]
v_accvgpr_read_b32 v[vgprValuC+50], acc201 // copy acc to vreg[202]
v_accvgpr_read_b32 v[vgprValuC+51], acc205 // copy acc to vreg[203]
v_accvgpr_read_b32 v[vgprValuC+52], acc209 // copy acc to vreg[204]
v_accvgpr_read_b32 v[vgprValuC+53], acc213 // copy acc to vreg[205]
v_accvgpr_read_b32 v[vgprValuC+54], acc217 // copy acc to vreg[206]
v_accvgpr_read_b32 v[vgprValuC+55], acc221 // copy acc to vreg[207]
v_accvgpr_read_b32 v[vgprValuC+56], acc194 // copy acc to vreg[208]
v_accvgpr_read_b32 v[vgprValuC+57], acc198 // copy acc to vreg[209]
v_accvgpr_read_b32 v[vgprValuC+58], acc202 // copy acc to vreg[210]
v_accvgpr_read_b32 v[vgprValuC+59], acc206 // copy acc to vreg[211]
v_accvgpr_read_b32 v[vgprValuC+60], acc210 // copy acc to vreg[212]
v_accvgpr_read_b32 v[vgprValuC+61], acc214 // copy acc to vreg[213]
v_accvgpr_read_b32 v[vgprValuC+62], acc218 // copy acc to vreg[214]
v_accvgpr_read_b32 v[vgprValuC+63], acc222 // copy acc to vreg[215]
v_accvgpr_read_b32 v[vgprValuC+72], acc195 // copy acc to vreg[216]
v_accvgpr_read_b32 v[vgprValuC+73], acc199 // copy acc to vreg[217]
v_accvgpr_read_b32 v[vgprValuC+74], acc203 // copy acc to vreg[218]
v_accvgpr_read_b32 v[vgprValuC+75], acc207 // copy acc to vreg[219]
v_accvgpr_read_b32 v[vgprValuC+76], acc211 // copy acc to vreg[220]
v_accvgpr_read_b32 v[vgprValuC+77], acc215 // copy acc to vreg[221]
v_accvgpr_read_b32 v[vgprValuC+78], acc219 // copy acc to vreg[222]
v_accvgpr_read_b32 v[vgprValuC+79], acc223 // copy acc to vreg[223]
s_nop 1                                            // 2 wait states required before reading vgpr

/* rC *= alpha batchElements=[(5, 0, 2, 0), (5, 0, 3, 0), (6, 0, 0, 0), (6, 0, 1, 0), (6, 0, 2, 0), (6, 0, 3, 0)] */
v_mul_f32 v[vgprValuC+16], s[sgprAlpha], v[vgprValuC+16] // *= alpha
v_mul_f32 v[vgprValuC+17], s[sgprAlpha], v[vgprValuC+17] // *= alpha
	;; [unrolled: 1-line block ×48, first 2 shown]

/* apply mask, calc new C and issue writes */
v_mov_b32 v10, 0x207                               // flag for Nan and +/- inf
v_mov_b32 v8, 0x47600000                           // save 57344.0f as max for clipping
v_mov_b32 v9, 0xC7600000                           // save -57344`.0f as min for clipping

s_waitcnt vmcnt(5)                                 // wait C (interleaved) 5 = 6 - 0 + 0 - 1
V_cvt_pk_f32_bf8 v[6:7], v14    // convert two f8 in lo_16 to f32
_v_mac_f32 v[vgprValuC+16], v6, s[sgprBeta]        // finalSum = sum*alpha + C*beta
_v_mac_f32 v[vgprValuC+17], v7, s[sgprBeta]        // finalSum = sum*alpha + C*beta
V_cvt_pk_f32_bf8 v[6:7], v14  src0_sel:WORD_1  // convert two f8 in hi_16 to f32
_v_mac_f32 v[vgprValuC+18], v6, s[sgprBeta]        // finalSum = sum*alpha + C*beta
_v_mac_f32 v[vgprValuC+19], v7, s[sgprBeta]        // finalSum = sum*alpha + C*beta
V_cvt_pk_f32_bf8 v[6:7], v15    // convert two f8 in lo_16 to f32
_v_mac_f32 v[vgprValuC+20], v6, s[sgprBeta]        // finalSum = sum*alpha + C*beta
_v_mac_f32 v[vgprValuC+21], v7, s[sgprBeta]        // finalSum = sum*alpha + C*beta
V_cvt_pk_f32_bf8 v[6:7], v15  src0_sel:WORD_1  // convert two f8 in hi_16 to f32
_v_mac_f32 v[vgprValuC+22], v6, s[sgprBeta]        // finalSum = sum*alpha + C*beta
_v_mac_f32 v[vgprValuC+23], v7, s[sgprBeta]        // finalSum = sum*alpha + C*beta
v_cmp_class_f32 s[54:55], v[vgprValuC+16], v10     // check NaN and +/-INF
v_med3_f32 v6, v[vgprValuC+16], v8, v9             // Clipping f32 value if exceeds the limit
v_cndmask_b32 v6, v6, v[vgprValuC+16], s[54:55]    // 
v_cmp_class_f32 s[54:55], v[vgprValuC+17], v10     // check NaN and +/-INF
v_med3_f32 v7, v[vgprValuC+17], v8, v9             // Clipping f32 value if exceeds the limit
v_cndmask_b32 v7, v7, v[vgprValuC+17], s[54:55]    // 
v_cvt_pk_bf8_f32  v16, v6, v7 op_sel:[0,0,0]       // convert two f32 accumulated values to fp8 and save it to lo_16[0:15]
v_cmp_class_f32 s[54:55], v[vgprValuC+18], v10     // check NaN and +/-INF
v_med3_f32 v6, v[vgprValuC+18], v8, v9             // Clipping f32 value if exceeds the limit
v_cndmask_b32 v6, v6, v[vgprValuC+18], s[54:55]    // 
v_cmp_class_f32 s[54:55], v[vgprValuC+19], v10     // check NaN and +/-INF
v_med3_f32 v7, v[vgprValuC+19], v8, v9             // Clipping f32 value if exceeds the limit
v_cndmask_b32 v7, v7, v[vgprValuC+19], s[54:55]    // 
v_cvt_pk_bf8_f32  v16, v6, v7 op_sel:[0,0,1]       // convert two f32 accumulated values to fp8 and save it to hi_16[16:31]
v_cmp_class_f32 s[54:55], v[vgprValuC+20], v10     // check NaN and +/-INF
v_med3_f32 v6, v[vgprValuC+20], v8, v9             // Clipping f32 value if exceeds the limit
v_cndmask_b32 v6, v6, v[vgprValuC+20], s[54:55]    // 
v_cmp_class_f32 s[54:55], v[vgprValuC+21], v10     // check NaN and +/-INF
v_med3_f32 v7, v[vgprValuC+21], v8, v9             // Clipping f32 value if exceeds the limit
v_cndmask_b32 v7, v7, v[vgprValuC+21], s[54:55]    // 
v_cvt_pk_bf8_f32  v17, v6, v7 op_sel:[0,0,0]       // convert two f32 accumulated values to fp8 and save it to lo_16[0:15]
v_cmp_class_f32 s[54:55], v[vgprValuC+22], v10     // check NaN and +/-INF
v_med3_f32 v6, v[vgprValuC+22], v8, v9             // Clipping f32 value if exceeds the limit
v_cndmask_b32 v6, v6, v[vgprValuC+22], s[54:55]    // 
v_cmp_class_f32 s[54:55], v[vgprValuC+23], v10     // check NaN and +/-INF
v_med3_f32 v7, v[vgprValuC+23], v8, v9             // Clipping f32 value if exceeds the limit
v_cndmask_b32 v7, v7, v[vgprValuC+23], s[54:55]    // 
v_cvt_pk_bf8_f32  v17, v6, v7 op_sel:[0,0,1]       // convert two f32 accumulated values to fp8 and save it to hi_16[16:31]
s_lshl_b32  s54, s[sgprStrideD1J], 0               // incToNextRow: Scale by BPE
s_add_u32  s[sgprSrdD+0], s[sgprSrdD+0], s54       // incToNextRow: gra SRD += inc(lower)
s_addc_u32  s[sgprSrdD+1], s[sgprSrdD+1], 0        // incToNextRow: gra SRD += inc(upper)
_buffer_store_b64 v[16:17], v11, s[sgprSrdD:sgprSrdD+3], 0, offen, offset:0,  sc0 sc1 // store D

s_waitcnt vmcnt(5)                                 // wait C (interleaved) 5 = 6 - 1 + 1 - 1
V_cvt_pk_f32_bf8 v[6:7], v24    // convert two f8 in lo_16 to f32
_v_mac_f32 v[vgprValuC+32], v6, s[sgprBeta]        // finalSum = sum*alpha + C*beta
_v_mac_f32 v[vgprValuC+33], v7, s[sgprBeta]        // finalSum = sum*alpha + C*beta
V_cvt_pk_f32_bf8 v[6:7], v24  src0_sel:WORD_1  // convert two f8 in hi_16 to f32
_v_mac_f32 v[vgprValuC+34], v6, s[sgprBeta]        // finalSum = sum*alpha + C*beta
_v_mac_f32 v[vgprValuC+35], v7, s[sgprBeta]        // finalSum = sum*alpha + C*beta
V_cvt_pk_f32_bf8 v[6:7], v25    // convert two f8 in lo_16 to f32
_v_mac_f32 v[vgprValuC+36], v6, s[sgprBeta]        // finalSum = sum*alpha + C*beta
_v_mac_f32 v[vgprValuC+37], v7, s[sgprBeta]        // finalSum = sum*alpha + C*beta
V_cvt_pk_f32_bf8 v[6:7], v25  src0_sel:WORD_1  // convert two f8 in hi_16 to f32
_v_mac_f32 v[vgprValuC+38], v6, s[sgprBeta]        // finalSum = sum*alpha + C*beta
_v_mac_f32 v[vgprValuC+39], v7, s[sgprBeta]        // finalSum = sum*alpha + C*beta
v_cmp_class_f32 s[54:55], v[vgprValuC+32], v10     // check NaN and +/-INF
v_med3_f32 v6, v[vgprValuC+32], v8, v9             // Clipping f32 value if exceeds the limit
v_cndmask_b32 v6, v6, v[vgprValuC+32], s[54:55]    // 
v_cmp_class_f32 s[54:55], v[vgprValuC+33], v10     // check NaN and +/-INF
v_med3_f32 v7, v[vgprValuC+33], v8, v9             // Clipping f32 value if exceeds the limit
v_cndmask_b32 v7, v7, v[vgprValuC+33], s[54:55]    // 
v_cvt_pk_bf8_f32  v32, v6, v7 op_sel:[0,0,0]       // convert two f32 accumulated values to fp8 and save it to lo_16[0:15]
v_cmp_class_f32 s[54:55], v[vgprValuC+34], v10     // check NaN and +/-INF
v_med3_f32 v6, v[vgprValuC+34], v8, v9             // Clipping f32 value if exceeds the limit
v_cndmask_b32 v6, v6, v[vgprValuC+34], s[54:55]    // 
v_cmp_class_f32 s[54:55], v[vgprValuC+35], v10     // check NaN and +/-INF
v_med3_f32 v7, v[vgprValuC+35], v8, v9             // Clipping f32 value if exceeds the limit
v_cndmask_b32 v7, v7, v[vgprValuC+35], s[54:55]    // 
v_cvt_pk_bf8_f32  v32, v6, v7 op_sel:[0,0,1]       // convert two f32 accumulated values to fp8 and save it to hi_16[16:31]
v_cmp_class_f32 s[54:55], v[vgprValuC+36], v10     // check NaN and +/-INF
v_med3_f32 v6, v[vgprValuC+36], v8, v9             // Clipping f32 value if exceeds the limit
v_cndmask_b32 v6, v6, v[vgprValuC+36], s[54:55]    // 
v_cmp_class_f32 s[54:55], v[vgprValuC+37], v10     // check NaN and +/-INF
v_med3_f32 v7, v[vgprValuC+37], v8, v9             // Clipping f32 value if exceeds the limit
v_cndmask_b32 v7, v7, v[vgprValuC+37], s[54:55]    // 
v_cvt_pk_bf8_f32  v33, v6, v7 op_sel:[0,0,0]       // convert two f32 accumulated values to fp8 and save it to lo_16[0:15]
v_cmp_class_f32 s[54:55], v[vgprValuC+38], v10     // check NaN and +/-INF
v_med3_f32 v6, v[vgprValuC+38], v8, v9             // Clipping f32 value if exceeds the limit
v_cndmask_b32 v6, v6, v[vgprValuC+38], s[54:55]    // 
v_cmp_class_f32 s[54:55], v[vgprValuC+39], v10     // check NaN and +/-INF
v_med3_f32 v7, v[vgprValuC+39], v8, v9             // Clipping f32 value if exceeds the limit
v_cndmask_b32 v7, v7, v[vgprValuC+39], s[54:55]    // 
v_cvt_pk_bf8_f32  v33, v6, v7 op_sel:[0,0,1]       // convert two f32 accumulated values to fp8 and save it to hi_16[16:31]
s_lshl_b32  s54, s[sgprStrideD1J], 0               // incToNextRow: Scale by BPE
s_add_u32  s[sgprSrdD+0], s[sgprSrdD+0], s54       // incToNextRow: gra SRD += inc(lower)
s_addc_u32  s[sgprSrdD+1], s[sgprSrdD+1], 0        // incToNextRow: gra SRD += inc(upper)
_buffer_store_b64 v[32:33], v11, s[sgprSrdD:sgprSrdD+3], 0, offen, offset:0,  sc0 sc1 // store D

s_waitcnt vmcnt(5)                                 // wait C (interleaved) 5 = 6 - 2 + 2 - 1
V_cvt_pk_f32_bf8 v[6:7], v26    // convert two f8 in lo_16 to f32
_v_mac_f32 v[vgprValuC+40], v6, s[sgprBeta]        // finalSum = sum*alpha + C*beta
_v_mac_f32 v[vgprValuC+41], v7, s[sgprBeta]        // finalSum = sum*alpha + C*beta
V_cvt_pk_f32_bf8 v[6:7], v26  src0_sel:WORD_1  // convert two f8 in hi_16 to f32
_v_mac_f32 v[vgprValuC+42], v6, s[sgprBeta]        // finalSum = sum*alpha + C*beta
_v_mac_f32 v[vgprValuC+43], v7, s[sgprBeta]        // finalSum = sum*alpha + C*beta
V_cvt_pk_f32_bf8 v[6:7], v27    // convert two f8 in lo_16 to f32
_v_mac_f32 v[vgprValuC+44], v6, s[sgprBeta]        // finalSum = sum*alpha + C*beta
_v_mac_f32 v[vgprValuC+45], v7, s[sgprBeta]        // finalSum = sum*alpha + C*beta
V_cvt_pk_f32_bf8 v[6:7], v27  src0_sel:WORD_1  // convert two f8 in hi_16 to f32
_v_mac_f32 v[vgprValuC+46], v6, s[sgprBeta]        // finalSum = sum*alpha + C*beta
_v_mac_f32 v[vgprValuC+47], v7, s[sgprBeta]        // finalSum = sum*alpha + C*beta
v_cmp_class_f32 s[54:55], v[vgprValuC+40], v10     // check NaN and +/-INF
v_med3_f32 v6, v[vgprValuC+40], v8, v9             // Clipping f32 value if exceeds the limit
v_cndmask_b32 v6, v6, v[vgprValuC+40], s[54:55]    // 
v_cmp_class_f32 s[54:55], v[vgprValuC+41], v10     // check NaN and +/-INF
v_med3_f32 v7, v[vgprValuC+41], v8, v9             // Clipping f32 value if exceeds the limit
v_cndmask_b32 v7, v7, v[vgprValuC+41], s[54:55]    // 
v_cvt_pk_bf8_f32  v40, v6, v7 op_sel:[0,0,0]       // convert two f32 accumulated values to fp8 and save it to lo_16[0:15]
v_cmp_class_f32 s[54:55], v[vgprValuC+42], v10     // check NaN and +/-INF
v_med3_f32 v6, v[vgprValuC+42], v8, v9             // Clipping f32 value if exceeds the limit
v_cndmask_b32 v6, v6, v[vgprValuC+42], s[54:55]    // 
v_cmp_class_f32 s[54:55], v[vgprValuC+43], v10     // check NaN and +/-INF
v_med3_f32 v7, v[vgprValuC+43], v8, v9             // Clipping f32 value if exceeds the limit
v_cndmask_b32 v7, v7, v[vgprValuC+43], s[54:55]    // 
v_cvt_pk_bf8_f32  v40, v6, v7 op_sel:[0,0,1]       // convert two f32 accumulated values to fp8 and save it to hi_16[16:31]
v_cmp_class_f32 s[54:55], v[vgprValuC+44], v10     // check NaN and +/-INF
v_med3_f32 v6, v[vgprValuC+44], v8, v9             // Clipping f32 value if exceeds the limit
v_cndmask_b32 v6, v6, v[vgprValuC+44], s[54:55]    // 
v_cmp_class_f32 s[54:55], v[vgprValuC+45], v10     // check NaN and +/-INF
v_med3_f32 v7, v[vgprValuC+45], v8, v9             // Clipping f32 value if exceeds the limit
v_cndmask_b32 v7, v7, v[vgprValuC+45], s[54:55]    // 
v_cvt_pk_bf8_f32  v41, v6, v7 op_sel:[0,0,0]       // convert two f32 accumulated values to fp8 and save it to lo_16[0:15]
v_cmp_class_f32 s[54:55], v[vgprValuC+46], v10     // check NaN and +/-INF
v_med3_f32 v6, v[vgprValuC+46], v8, v9             // Clipping f32 value if exceeds the limit
v_cndmask_b32 v6, v6, v[vgprValuC+46], s[54:55]    // 
v_cmp_class_f32 s[54:55], v[vgprValuC+47], v10     // check NaN and +/-INF
v_med3_f32 v7, v[vgprValuC+47], v8, v9             // Clipping f32 value if exceeds the limit
v_cndmask_b32 v7, v7, v[vgprValuC+47], s[54:55]    // 
v_cvt_pk_bf8_f32  v41, v6, v7 op_sel:[0,0,1]       // convert two f32 accumulated values to fp8 and save it to hi_16[16:31]
s_mul_i32 s54, s[sgprStrideD1J], 29                // scale StrideD *= numRows(29) * bpe
s_add_u32  s[sgprSrdD+0], s[sgprSrdD+0], s54       // incToNextRow: gra SRD += inc(lower)
s_addc_u32  s[sgprSrdD+1], s[sgprSrdD+1], 0        // incToNextRow: gra SRD += inc(upper)
_buffer_store_b64 v[40:41], v11, s[sgprSrdD:sgprSrdD+3], 0, offen, offset:0,  sc0 sc1 // store D

s_waitcnt vmcnt(5)                                 // wait C (interleaved) 5 = 6 - 3 + 3 - 1
V_cvt_pk_f32_bf8 v[6:7], v28    // convert two f8 in lo_16 to f32
_v_mac_f32 v[vgprValuC+48], v6, s[sgprBeta]        // finalSum = sum*alpha + C*beta
_v_mac_f32 v[vgprValuC+49], v7, s[sgprBeta]        // finalSum = sum*alpha + C*beta
V_cvt_pk_f32_bf8 v[6:7], v28  src0_sel:WORD_1  // convert two f8 in hi_16 to f32
_v_mac_f32 v[vgprValuC+50], v6, s[sgprBeta]        // finalSum = sum*alpha + C*beta
_v_mac_f32 v[vgprValuC+51], v7, s[sgprBeta]        // finalSum = sum*alpha + C*beta
V_cvt_pk_f32_bf8 v[6:7], v29    // convert two f8 in lo_16 to f32
_v_mac_f32 v[vgprValuC+52], v6, s[sgprBeta]        // finalSum = sum*alpha + C*beta
_v_mac_f32 v[vgprValuC+53], v7, s[sgprBeta]        // finalSum = sum*alpha + C*beta
V_cvt_pk_f32_bf8 v[6:7], v29  src0_sel:WORD_1  // convert two f8 in hi_16 to f32
_v_mac_f32 v[vgprValuC+54], v6, s[sgprBeta]        // finalSum = sum*alpha + C*beta
_v_mac_f32 v[vgprValuC+55], v7, s[sgprBeta]        // finalSum = sum*alpha + C*beta
v_cmp_class_f32 s[54:55], v[vgprValuC+48], v10     // check NaN and +/-INF
v_med3_f32 v6, v[vgprValuC+48], v8, v9             // Clipping f32 value if exceeds the limit
v_cndmask_b32 v6, v6, v[vgprValuC+48], s[54:55]    // 
v_cmp_class_f32 s[54:55], v[vgprValuC+49], v10     // check NaN and +/-INF
v_med3_f32 v7, v[vgprValuC+49], v8, v9             // Clipping f32 value if exceeds the limit
v_cndmask_b32 v7, v7, v[vgprValuC+49], s[54:55]    // 
v_cvt_pk_bf8_f32  v48, v6, v7 op_sel:[0,0,0]       // convert two f32 accumulated values to fp8 and save it to lo_16[0:15]
v_cmp_class_f32 s[54:55], v[vgprValuC+50], v10     // check NaN and +/-INF
v_med3_f32 v6, v[vgprValuC+50], v8, v9             // Clipping f32 value if exceeds the limit
v_cndmask_b32 v6, v6, v[vgprValuC+50], s[54:55]    // 
v_cmp_class_f32 s[54:55], v[vgprValuC+51], v10     // check NaN and +/-INF
v_med3_f32 v7, v[vgprValuC+51], v8, v9             // Clipping f32 value if exceeds the limit
v_cndmask_b32 v7, v7, v[vgprValuC+51], s[54:55]    // 
v_cvt_pk_bf8_f32  v48, v6, v7 op_sel:[0,0,1]       // convert two f32 accumulated values to fp8 and save it to hi_16[16:31]
v_cmp_class_f32 s[54:55], v[vgprValuC+52], v10     // check NaN and +/-INF
v_med3_f32 v6, v[vgprValuC+52], v8, v9             // Clipping f32 value if exceeds the limit
v_cndmask_b32 v6, v6, v[vgprValuC+52], s[54:55]    // 
v_cmp_class_f32 s[54:55], v[vgprValuC+53], v10     // check NaN and +/-INF
v_med3_f32 v7, v[vgprValuC+53], v8, v9             // Clipping f32 value if exceeds the limit
v_cndmask_b32 v7, v7, v[vgprValuC+53], s[54:55]    // 
v_cvt_pk_bf8_f32  v49, v6, v7 op_sel:[0,0,0]       // convert two f32 accumulated values to fp8 and save it to lo_16[0:15]
v_cmp_class_f32 s[54:55], v[vgprValuC+54], v10     // check NaN and +/-INF
v_med3_f32 v6, v[vgprValuC+54], v8, v9             // Clipping f32 value if exceeds the limit
v_cndmask_b32 v6, v6, v[vgprValuC+54], s[54:55]    // 
v_cmp_class_f32 s[54:55], v[vgprValuC+55], v10     // check NaN and +/-INF
v_med3_f32 v7, v[vgprValuC+55], v8, v9             // Clipping f32 value if exceeds the limit
v_cndmask_b32 v7, v7, v[vgprValuC+55], s[54:55]    // 
v_cvt_pk_bf8_f32  v49, v6, v7 op_sel:[0,0,1]       // convert two f32 accumulated values to fp8 and save it to hi_16[16:31]
s_lshl_b32  s54, s[sgprStrideD1J], 0               // incToNextRow: Scale by BPE
s_add_u32  s[sgprSrdD+0], s[sgprSrdD+0], s54       // incToNextRow: gra SRD += inc(lower)
s_addc_u32  s[sgprSrdD+1], s[sgprSrdD+1], 0        // incToNextRow: gra SRD += inc(upper)
_buffer_store_b64 v[48:49], v11, s[sgprSrdD:sgprSrdD+3], 0, offen, offset:0,  sc0 sc1 // store D

s_waitcnt vmcnt(5)                                 // wait C (interleaved) 5 = 6 - 4 + 4 - 1
V_cvt_pk_f32_bf8 v[6:7], v30    // convert two f8 in lo_16 to f32
_v_mac_f32 v[vgprValuC+56], v6, s[sgprBeta]        // finalSum = sum*alpha + C*beta
_v_mac_f32 v[vgprValuC+57], v7, s[sgprBeta]        // finalSum = sum*alpha + C*beta
V_cvt_pk_f32_bf8 v[6:7], v30  src0_sel:WORD_1  // convert two f8 in hi_16 to f32
_v_mac_f32 v[vgprValuC+58], v6, s[sgprBeta]        // finalSum = sum*alpha + C*beta
_v_mac_f32 v[vgprValuC+59], v7, s[sgprBeta]        // finalSum = sum*alpha + C*beta
V_cvt_pk_f32_bf8 v[6:7], v31    // convert two f8 in lo_16 to f32
_v_mac_f32 v[vgprValuC+60], v6, s[sgprBeta]        // finalSum = sum*alpha + C*beta
_v_mac_f32 v[vgprValuC+61], v7, s[sgprBeta]        // finalSum = sum*alpha + C*beta
V_cvt_pk_f32_bf8 v[6:7], v31  src0_sel:WORD_1  // convert two f8 in hi_16 to f32
_v_mac_f32 v[vgprValuC+62], v6, s[sgprBeta]        // finalSum = sum*alpha + C*beta
_v_mac_f32 v[vgprValuC+63], v7, s[sgprBeta]        // finalSum = sum*alpha + C*beta
v_cmp_class_f32 s[54:55], v[vgprValuC+56], v10     // check NaN and +/-INF
v_med3_f32 v6, v[vgprValuC+56], v8, v9             // Clipping f32 value if exceeds the limit
v_cndmask_b32 v6, v6, v[vgprValuC+56], s[54:55]    // 
v_cmp_class_f32 s[54:55], v[vgprValuC+57], v10     // check NaN and +/-INF
v_med3_f32 v7, v[vgprValuC+57], v8, v9             // Clipping f32 value if exceeds the limit
v_cndmask_b32 v7, v7, v[vgprValuC+57], s[54:55]    // 
v_cvt_pk_bf8_f32  v56, v6, v7 op_sel:[0,0,0]       // convert two f32 accumulated values to fp8 and save it to lo_16[0:15]
v_cmp_class_f32 s[54:55], v[vgprValuC+58], v10     // check NaN and +/-INF
v_med3_f32 v6, v[vgprValuC+58], v8, v9             // Clipping f32 value if exceeds the limit
v_cndmask_b32 v6, v6, v[vgprValuC+58], s[54:55]    // 
v_cmp_class_f32 s[54:55], v[vgprValuC+59], v10     // check NaN and +/-INF
v_med3_f32 v7, v[vgprValuC+59], v8, v9             // Clipping f32 value if exceeds the limit
v_cndmask_b32 v7, v7, v[vgprValuC+59], s[54:55]    // 
v_cvt_pk_bf8_f32  v56, v6, v7 op_sel:[0,0,1]       // convert two f32 accumulated values to fp8 and save it to hi_16[16:31]
v_cmp_class_f32 s[54:55], v[vgprValuC+60], v10     // check NaN and +/-INF
v_med3_f32 v6, v[vgprValuC+60], v8, v9             // Clipping f32 value if exceeds the limit
v_cndmask_b32 v6, v6, v[vgprValuC+60], s[54:55]    // 
v_cmp_class_f32 s[54:55], v[vgprValuC+61], v10     // check NaN and +/-INF
v_med3_f32 v7, v[vgprValuC+61], v8, v9             // Clipping f32 value if exceeds the limit
v_cndmask_b32 v7, v7, v[vgprValuC+61], s[54:55]    // 
v_cvt_pk_bf8_f32  v57, v6, v7 op_sel:[0,0,0]       // convert two f32 accumulated values to fp8 and save it to lo_16[0:15]
v_cmp_class_f32 s[54:55], v[vgprValuC+62], v10     // check NaN and +/-INF
v_med3_f32 v6, v[vgprValuC+62], v8, v9             // Clipping f32 value if exceeds the limit
v_cndmask_b32 v6, v6, v[vgprValuC+62], s[54:55]    // 
v_cmp_class_f32 s[54:55], v[vgprValuC+63], v10     // check NaN and +/-INF
v_med3_f32 v7, v[vgprValuC+63], v8, v9             // Clipping f32 value if exceeds the limit
v_cndmask_b32 v7, v7, v[vgprValuC+63], s[54:55]    // 
v_cvt_pk_bf8_f32  v57, v6, v7 op_sel:[0,0,1]       // convert two f32 accumulated values to fp8 and save it to hi_16[16:31]
s_lshl_b32  s54, s[sgprStrideD1J], 0               // incToNextRow: Scale by BPE
	;; [unrolled: 46-line block ×3, first 2 shown]
s_add_u32  s[sgprSrdD+0], s[sgprSrdD+0], s54       // incToNextRow: gra SRD += inc(lower)
s_addc_u32  s[sgprSrdD+1], s[sgprSrdD+1], 0        // incToNextRow: gra SRD += inc(upper)
_buffer_store_b64 v[72:73], v11, s[sgprSrdD:sgprSrdD+3], 0, offen, offset:0,  sc0 sc1 // store D
s_nop 0                                            // 1 wait state required when next inst writes vgprs held by previous dwordx4 store inst
s_branch label_GW_End_42                           // jump to end
GW_B1_E1_41:

/* edge=1, allocate 6 sgpr. perBatchTmpS=4 perBatchMaskS=2 perElementMaskS=0 elementsPerBatch=20 */
/* optSingleColVgpr=0 optSharedColVgpr=0 optSGPRUsage=BufferLoad_Edge_Mask optSrdIncForRow=0 */

/******************************************/
/* Global Write Alpha Beta Edge Batch #0 (d1,d0,vc1,vc0) = */
/*    (0,0,0,0:vw8); (0,0,1,0:vw8); (0,0,2,0:vw8); (0,0,3,0:vw8); (1,0,0,0:vw8); (1,0,1,0:vw8); (1,0,2,0:vw8); (1,0,3,0:vw8); (2,0,0,0:vw8); (2,0,1,0:vw8); (2,0,2,0:vw8); (2,0,3,0:vw8); (3,0,0,0:vw8); (3,0,1,0:vw8); (3,0,2,0:vw8); (3,0,3,0:vw8); (4,0,0,0:vw8); (4,0,1,0:vw8); (4,0,2,0:vw8); (4,0,3,0:vw8) */
/******************************************/

/* calc coords, apply mask, and issue loads (if necessary) */
/* (d1,vc1,d0,vc0)=(0,0,0,0) */
v_cmp_lt_u32 s[54:55], v0, s[sgprSizeI]            // coord0 < size0
v_cmp_lt_u32 s[58:59], v1, s[sgprSizeJ]            // coord1 < size1
s_and_b64 s[58:59], s[54:55], s[58:59]             // in0 && in1
_v_add_lshl_u32 v11, v2, v0, 0x0                   // scaleToBpe: accumulate d0 lower and *= bpe into Cin addr
v_cndmask_b32 v11, -1, v11, s[58:59]               // LDC clip if OOB. offset
_buffer_load_b64 v[12:13], v11, s[sgprSrdC:sgprSrdC+3], 0, offen offset:0,  sc0 sc1 // load C for beta calc
_v_add_lshl_u32 v11, v3, v0, 0x0                   // scaleToBpe: accumulate d0 lower and *= bpe into Cin addr
v_cndmask_b32 v11, -1, v11, s[58:59]               // LDD clip if OOB. offset
/* (d1,vc1,d0,vc0)=(0,1,0,0) */
_v_add_co_u32 v1, vcc, v1, 1                       // coord1.1: coord1Vgpr += d1*sg1*VW + vc1

/* Fix for UseInitialStridesCD, emitAddressSetupCode */
_v_add_u32 v2, v2, s[sgprStrideC1J]                // ROWINC- Move cinRowPtr to next row
_v_add_u32 v3, v3, s[sgprStrideD1J]                // Move coutRowPtr to next row
v_cmp_lt_u32 s[54:55], v0, s[sgprSizeI]            // coord0 < size0
v_cmp_lt_u32 s[58:59], v1, s[sgprSizeJ]            // coord1 < size1
s_and_b64 s[58:59], s[54:55], s[58:59]             // in0 && in1
_v_add_lshl_u32 v14, v2, v0, 0x0                   // scaleToBpe: accumulate d0 lower and *= bpe into Cin addr
v_cndmask_b32 v14, -1, v14, s[58:59]               // LDC clip if OOB. offset
_buffer_load_b64 v[24:25], v14, s[sgprSrdC:sgprSrdC+3], 0, offen offset:0,  sc0 sc1 // load C for beta calc
_v_add_lshl_u32 v14, v3, v0, 0x0                   // scaleToBpe: accumulate d0 lower and *= bpe into Cin addr
v_cndmask_b32 v14, -1, v14, s[58:59]               // LDD clip if OOB. offset
/* (d1,vc1,d0,vc0)=(0,2,0,0) */
_v_add_co_u32 v1, vcc, v1, 1                       // coord1.1: coord1Vgpr += d1*sg1*VW + vc1

/* Fix for UseInitialStridesCD, emitAddressSetupCode */
_v_add_u32 v2, v2, s[sgprStrideC1J]                // ROWINC- Move cinRowPtr to next row
_v_add_u32 v3, v3, s[sgprStrideD1J]                // Move coutRowPtr to next row
	;; [unrolled: 14-line block ×3, first 2 shown]
v_cmp_lt_u32 s[54:55], v0, s[sgprSizeI]            // coord0 < size0
v_cmp_lt_u32 s[58:59], v1, s[sgprSizeJ]            // coord1 < size1
s_and_b64 s[58:59], s[54:55], s[58:59]             // in0 && in1
_v_add_lshl_u32 v28, v2, v0, 0x0                   // scaleToBpe: accumulate d0 lower and *= bpe into Cin addr
v_cndmask_b32 v28, -1, v28, s[58:59]               // LDC clip if OOB. offset
_buffer_load_b64 v[30:31], v28, s[sgprSrdC:sgprSrdC+3], 0, offen offset:0,  sc0 sc1 // load C for beta calc
_v_add_lshl_u32 v28, v3, v0, 0x0                   // scaleToBpe: accumulate d0 lower and *= bpe into Cin addr
v_cndmask_b32 v28, -1, v28, s[58:59]               // LDD clip if OOB. offset
/* (d1,vc1,d0,vc0)=(1,0,0,0) */
_v_add_co_u32 v1, vcc, v1, 29                      // coord1.1: coord1Vgpr += d1*sg1*VW + vc1

/* Fix for UseInitialStridesCD, emitAddressSetupCode */
s_mul_i32 s54, s[sgprStrideC1J], 29                // scale stride
_v_add_u32 v2, v2, s54                             // ROWINC- Move cinRowPtr to next row
s_mul_i32 s54, s[sgprStrideD1J], 29                // scale stride
_v_add_u32 v3, v3, s54                             // Move coutRowPtr to next row
v_cmp_lt_u32 s[54:55], v0, s[sgprSizeI]            // coord0 < size0
v_cmp_lt_u32 s[58:59], v1, s[sgprSizeJ]            // coord1 < size1
s_and_b64 s[58:59], s[54:55], s[58:59]             // in0 && in1
_v_add_lshl_u32 v29, v2, v0, 0x0                   // scaleToBpe: accumulate d0 lower and *= bpe into Cin addr
v_cndmask_b32 v29, -1, v29, s[58:59]               // LDC clip if OOB. offset
_buffer_load_b64 v[56:57], v29, s[sgprSrdC:sgprSrdC+3], 0, offen offset:0,  sc0 sc1 // load C for beta calc
_v_add_lshl_u32 v29, v3, v0, 0x0                   // scaleToBpe: accumulate d0 lower and *= bpe into Cin addr
v_cndmask_b32 v29, -1, v29, s[58:59]               // LDD clip if OOB. offset
/* (d1,vc1,d0,vc0)=(1,1,0,0) */
_v_add_co_u32 v1, vcc, v1, 1                       // coord1.1: coord1Vgpr += d1*sg1*VW + vc1

/* Fix for UseInitialStridesCD, emitAddressSetupCode */
_v_add_u32 v2, v2, s[sgprStrideC1J]                // ROWINC- Move cinRowPtr to next row
_v_add_u32 v3, v3, s[sgprStrideD1J]                // Move coutRowPtr to next row
v_cmp_lt_u32 s[54:55], v0, s[sgprSizeI]            // coord0 < size0
v_cmp_lt_u32 s[58:59], v1, s[sgprSizeJ]            // coord1 < size1
s_and_b64 s[58:59], s[54:55], s[58:59]             // in0 && in1
_v_add_lshl_u32 v58, v2, v0, 0x0                   // scaleToBpe: accumulate d0 lower and *= bpe into Cin addr
v_cndmask_b32 v58, -1, v58, s[58:59]               // LDC clip if OOB. offset
_buffer_load_b64 v[60:61], v58, s[sgprSrdC:sgprSrdC+3], 0, offen offset:0,  sc0 sc1 // load C for beta calc
_v_add_lshl_u32 v58, v3, v0, 0x0                   // scaleToBpe: accumulate d0 lower and *= bpe into Cin addr
v_cndmask_b32 v58, -1, v58, s[58:59]               // LDD clip if OOB. offset
/* (d1,vc1,d0,vc0)=(1,2,0,0) */
_v_add_co_u32 v1, vcc, v1, 1                       // coord1.1: coord1Vgpr += d1*sg1*VW + vc1

/* Fix for UseInitialStridesCD, emitAddressSetupCode */
_v_add_u32 v2, v2, s[sgprStrideC1J]                // ROWINC- Move cinRowPtr to next row
_v_add_u32 v3, v3, s[sgprStrideD1J]                // Move coutRowPtr to next row
	;; [unrolled: 14-line block ×3, first 2 shown]
v_cmp_lt_u32 s[54:55], v0, s[sgprSizeI]            // coord0 < size0
v_cmp_lt_u32 s[58:59], v1, s[sgprSizeJ]            // coord1 < size1
s_and_b64 s[58:59], s[54:55], s[58:59]             // in0 && in1
_v_add_lshl_u32 v88, v2, v0, 0x0                   // scaleToBpe: accumulate d0 lower and *= bpe into Cin addr
v_cndmask_b32 v88, -1, v88, s[58:59]               // LDC clip if OOB. offset
_buffer_load_b64 v[90:91], v88, s[sgprSrdC:sgprSrdC+3], 0, offen offset:0,  sc0 sc1 // load C for beta calc
_v_add_lshl_u32 v88, v3, v0, 0x0                   // scaleToBpe: accumulate d0 lower and *= bpe into Cin addr
v_cndmask_b32 v88, -1, v88, s[58:59]               // LDD clip if OOB. offset
/* (d1,vc1,d0,vc0)=(2,0,0,0) */
_v_add_co_u32 v1, vcc, v1, 29                      // coord1.1: coord1Vgpr += d1*sg1*VW + vc1

/* Fix for UseInitialStridesCD, emitAddressSetupCode */
s_mul_i32 s54, s[sgprStrideC1J], 29                // scale stride
_v_add_u32 v2, v2, s54                             // ROWINC- Move cinRowPtr to next row
s_mul_i32 s54, s[sgprStrideD1J], 29                // scale stride
_v_add_u32 v3, v3, s54                             // Move coutRowPtr to next row
v_cmp_lt_u32 s[54:55], v0, s[sgprSizeI]            // coord0 < size0
v_cmp_lt_u32 s[58:59], v1, s[sgprSizeJ]            // coord1 < size1
s_and_b64 s[58:59], s[54:55], s[58:59]             // in0 && in1
_v_add_lshl_u32 v89, v2, v0, 0x0                   // scaleToBpe: accumulate d0 lower and *= bpe into Cin addr
v_cndmask_b32 v89, -1, v89, s[58:59]               // LDC clip if OOB. offset
_buffer_load_b64 v[92:93], v89, s[sgprSrdC:sgprSrdC+3], 0, offen offset:0,  sc0 sc1 // load C for beta calc
_v_add_lshl_u32 v89, v3, v0, 0x0                   // scaleToBpe: accumulate d0 lower and *= bpe into Cin addr
v_cndmask_b32 v89, -1, v89, s[58:59]               // LDD clip if OOB. offset
/* (d1,vc1,d0,vc0)=(2,1,0,0) */
_v_add_co_u32 v1, vcc, v1, 1                       // coord1.1: coord1Vgpr += d1*sg1*VW + vc1

/* Fix for UseInitialStridesCD, emitAddressSetupCode */
_v_add_u32 v2, v2, s[sgprStrideC1J]                // ROWINC- Move cinRowPtr to next row
_v_add_u32 v3, v3, s[sgprStrideD1J]                // Move coutRowPtr to next row
v_cmp_lt_u32 s[54:55], v0, s[sgprSizeI]            // coord0 < size0
v_cmp_lt_u32 s[58:59], v1, s[sgprSizeJ]            // coord1 < size1
s_and_b64 s[58:59], s[54:55], s[58:59]             // in0 && in1
_v_add_lshl_u32 v94, v2, v0, 0x0                   // scaleToBpe: accumulate d0 lower and *= bpe into Cin addr
v_cndmask_b32 v94, -1, v94, s[58:59]               // LDC clip if OOB. offset
_buffer_load_b64 v[112:113], v94, s[sgprSrdC:sgprSrdC+3], 0, offen offset:0,  sc0 sc1 // load C for beta calc
_v_add_lshl_u32 v94, v3, v0, 0x0                   // scaleToBpe: accumulate d0 lower and *= bpe into Cin addr
v_cndmask_b32 v94, -1, v94, s[58:59]               // LDD clip if OOB. offset
/* (d1,vc1,d0,vc0)=(2,2,0,0) */
_v_add_co_u32 v1, vcc, v1, 1                       // coord1.1: coord1Vgpr += d1*sg1*VW + vc1

/* Fix for UseInitialStridesCD, emitAddressSetupCode */
_v_add_u32 v2, v2, s[sgprStrideC1J]                // ROWINC- Move cinRowPtr to next row
_v_add_u32 v3, v3, s[sgprStrideD1J]                // Move coutRowPtr to next row
	;; [unrolled: 14-line block ×3, first 2 shown]
v_cmp_lt_u32 s[54:55], v0, s[sgprSizeI]            // coord0 < size0
v_cmp_lt_u32 s[58:59], v1, s[sgprSizeJ]            // coord1 < size1
s_and_b64 s[58:59], s[54:55], s[58:59]             // in0 && in1
_v_add_lshl_u32 v116, v2, v0, 0x0                  // scaleToBpe: accumulate d0 lower and *= bpe into Cin addr
v_cndmask_b32 v116, -1, v116, s[58:59]             // LDC clip if OOB. offset
_buffer_load_b64 v[118:119], v116, s[sgprSrdC:sgprSrdC+3], 0, offen offset:0,  sc0 sc1 // load C for beta calc
_v_add_lshl_u32 v116, v3, v0, 0x0                  // scaleToBpe: accumulate d0 lower and *= bpe into Cin addr
v_cndmask_b32 v116, -1, v116, s[58:59]             // LDD clip if OOB. offset
/* (d1,vc1,d0,vc0)=(3,0,0,0) */
_v_add_co_u32 v1, vcc, v1, 29                      // coord1.1: coord1Vgpr += d1*sg1*VW + vc1

/* Fix for UseInitialStridesCD, emitAddressSetupCode */
s_mul_i32 s54, s[sgprStrideC1J], 29                // scale stride
_v_add_u32 v2, v2, s54                             // ROWINC- Move cinRowPtr to next row
s_mul_i32 s54, s[sgprStrideD1J], 29                // scale stride
_v_add_u32 v3, v3, s54                             // Move coutRowPtr to next row
v_cmp_lt_u32 s[54:55], v0, s[sgprSizeI]            // coord0 < size0
v_cmp_lt_u32 s[58:59], v1, s[sgprSizeJ]            // coord1 < size1
s_and_b64 s[58:59], s[54:55], s[58:59]             // in0 && in1
_v_add_lshl_u32 v117, v2, v0, 0x0                  // scaleToBpe: accumulate d0 lower and *= bpe into Cin addr
v_cndmask_b32 v117, -1, v117, s[58:59]             // LDC clip if OOB. offset
_buffer_load_b64 v[144:145], v117, s[sgprSrdC:sgprSrdC+3], 0, offen offset:0,  sc0 sc1 // load C for beta calc
_v_add_lshl_u32 v117, v3, v0, 0x0                  // scaleToBpe: accumulate d0 lower and *= bpe into Cin addr
v_cndmask_b32 v117, -1, v117, s[58:59]             // LDD clip if OOB. offset
/* (d1,vc1,d0,vc0)=(3,1,0,0) */
_v_add_co_u32 v1, vcc, v1, 1                       // coord1.1: coord1Vgpr += d1*sg1*VW + vc1

/* Fix for UseInitialStridesCD, emitAddressSetupCode */
_v_add_u32 v2, v2, s[sgprStrideC1J]                // ROWINC- Move cinRowPtr to next row
_v_add_u32 v3, v3, s[sgprStrideD1J]                // Move coutRowPtr to next row
v_cmp_lt_u32 s[54:55], v0, s[sgprSizeI]            // coord0 < size0
v_cmp_lt_u32 s[58:59], v1, s[sgprSizeJ]            // coord1 < size1
s_and_b64 s[58:59], s[54:55], s[58:59]             // in0 && in1
_v_add_lshl_u32 v146, v2, v0, 0x0                  // scaleToBpe: accumulate d0 lower and *= bpe into Cin addr
v_cndmask_b32 v146, -1, v146, s[58:59]             // LDC clip if OOB. offset
_buffer_load_b64 v[148:149], v146, s[sgprSrdC:sgprSrdC+3], 0, offen offset:0,  sc0 sc1 // load C for beta calc
_v_add_lshl_u32 v146, v3, v0, 0x0                  // scaleToBpe: accumulate d0 lower and *= bpe into Cin addr
v_cndmask_b32 v146, -1, v146, s[58:59]             // LDD clip if OOB. offset
/* (d1,vc1,d0,vc0)=(3,2,0,0) */
_v_add_co_u32 v1, vcc, v1, 1                       // coord1.1: coord1Vgpr += d1*sg1*VW + vc1

/* Fix for UseInitialStridesCD, emitAddressSetupCode */
_v_add_u32 v2, v2, s[sgprStrideC1J]                // ROWINC- Move cinRowPtr to next row
_v_add_u32 v3, v3, s[sgprStrideD1J]                // Move coutRowPtr to next row
	;; [unrolled: 14-line block ×3, first 2 shown]
v_cmp_lt_u32 s[54:55], v0, s[sgprSizeI]            // coord0 < size0
v_cmp_lt_u32 s[58:59], v1, s[sgprSizeJ]            // coord1 < size1
s_and_b64 s[58:59], s[54:55], s[58:59]             // in0 && in1
_v_add_lshl_u32 v176, v2, v0, 0x0                  // scaleToBpe: accumulate d0 lower and *= bpe into Cin addr
v_cndmask_b32 v176, -1, v176, s[58:59]             // LDC clip if OOB. offset
_buffer_load_b64 v[178:179], v176, s[sgprSrdC:sgprSrdC+3], 0, offen offset:0,  sc0 sc1 // load C for beta calc
_v_add_lshl_u32 v176, v3, v0, 0x0                  // scaleToBpe: accumulate d0 lower and *= bpe into Cin addr
v_cndmask_b32 v176, -1, v176, s[58:59]             // LDD clip if OOB. offset
/* (d1,vc1,d0,vc0)=(4,0,0,0) */
_v_add_co_u32 v1, vcc, v1, 29                      // coord1.1: coord1Vgpr += d1*sg1*VW + vc1

/* Fix for UseInitialStridesCD, emitAddressSetupCode */
s_mul_i32 s54, s[sgprStrideC1J], 29                // scale stride
_v_add_u32 v2, v2, s54                             // ROWINC- Move cinRowPtr to next row
s_mul_i32 s54, s[sgprStrideD1J], 29                // scale stride
_v_add_u32 v3, v3, s54                             // Move coutRowPtr to next row
v_cmp_lt_u32 s[54:55], v0, s[sgprSizeI]            // coord0 < size0
v_cmp_lt_u32 s[58:59], v1, s[sgprSizeJ]            // coord1 < size1
s_and_b64 s[58:59], s[54:55], s[58:59]             // in0 && in1
_v_add_lshl_u32 v177, v2, v0, 0x0                  // scaleToBpe: accumulate d0 lower and *= bpe into Cin addr
v_cndmask_b32 v177, -1, v177, s[58:59]             // LDC clip if OOB. offset
_buffer_load_b64 v[180:181], v177, s[sgprSrdC:sgprSrdC+3], 0, offen offset:0,  sc0 sc1 // load C for beta calc
_v_add_lshl_u32 v177, v3, v0, 0x0                  // scaleToBpe: accumulate d0 lower and *= bpe into Cin addr
v_cndmask_b32 v177, -1, v177, s[58:59]             // LDD clip if OOB. offset
/* (d1,vc1,d0,vc0)=(4,1,0,0) */
_v_add_co_u32 v1, vcc, v1, 1                       // coord1.1: coord1Vgpr += d1*sg1*VW + vc1

/* Fix for UseInitialStridesCD, emitAddressSetupCode */
_v_add_u32 v2, v2, s[sgprStrideC1J]                // ROWINC- Move cinRowPtr to next row
_v_add_u32 v3, v3, s[sgprStrideD1J]                // Move coutRowPtr to next row
v_cmp_lt_u32 s[54:55], v0, s[sgprSizeI]            // coord0 < size0
v_cmp_lt_u32 s[58:59], v1, s[sgprSizeJ]            // coord1 < size1
s_and_b64 s[58:59], s[54:55], s[58:59]             // in0 && in1
_v_add_lshl_u32 v182, v2, v0, 0x0                  // scaleToBpe: accumulate d0 lower and *= bpe into Cin addr
v_cndmask_b32 v182, -1, v182, s[58:59]             // LDC clip if OOB. offset
_buffer_load_b64 v[200:201], v182, s[sgprSrdC:sgprSrdC+3], 0, offen offset:0,  sc0 sc1 // load C for beta calc
_v_add_lshl_u32 v182, v3, v0, 0x0                  // scaleToBpe: accumulate d0 lower and *= bpe into Cin addr
v_cndmask_b32 v182, -1, v182, s[58:59]             // LDD clip if OOB. offset
/* (d1,vc1,d0,vc0)=(4,2,0,0) */
_v_add_co_u32 v1, vcc, v1, 1                       // coord1.1: coord1Vgpr += d1*sg1*VW + vc1

/* Fix for UseInitialStridesCD, emitAddressSetupCode */
_v_add_u32 v2, v2, s[sgprStrideC1J]                // ROWINC- Move cinRowPtr to next row
_v_add_u32 v3, v3, s[sgprStrideD1J]                // Move coutRowPtr to next row
	;; [unrolled: 14-line block ×3, first 2 shown]
v_cmp_lt_u32 s[54:55], v0, s[sgprSizeI]            // coord0 < size0
v_cmp_lt_u32 s[58:59], v1, s[sgprSizeJ]            // coord1 < size1
s_and_b64 s[58:59], s[54:55], s[58:59]             // in0 && in1
_v_add_lshl_u32 v204, v2, v0, 0x0                  // scaleToBpe: accumulate d0 lower and *= bpe into Cin addr
v_cndmask_b32 v204, -1, v204, s[58:59]             // LDC clip if OOB. offset
_buffer_load_b64 v[206:207], v204, s[sgprSrdC:sgprSrdC+3], 0, offen offset:0,  sc0 sc1 // load C for beta calc
_v_add_lshl_u32 v204, v3, v0, 0x0                  // scaleToBpe: accumulate d0 lower and *= bpe into Cin addr
v_cndmask_b32 v204, -1, v204, s[58:59]             // LDD clip if OOB. offset
v_accvgpr_read_b32 v[vgprValuC+16], acc0 // copy acc to vreg[0]
v_accvgpr_read_b32 v[vgprValuC+17], acc4 // copy acc to vreg[1]
v_accvgpr_read_b32 v[vgprValuC+18], acc8 // copy acc to vreg[2]
v_accvgpr_read_b32 v[vgprValuC+19], acc12 // copy acc to vreg[3]
v_accvgpr_read_b32 v[vgprValuC+20], acc16 // copy acc to vreg[4]
v_accvgpr_read_b32 v[vgprValuC+21], acc20 // copy acc to vreg[5]
v_accvgpr_read_b32 v[vgprValuC+22], acc24 // copy acc to vreg[6]
v_accvgpr_read_b32 v[vgprValuC+23], acc28 // copy acc to vreg[7]
v_accvgpr_read_b32 v[vgprValuC+32], acc1 // copy acc to vreg[8]
v_accvgpr_read_b32 v[vgprValuC+33], acc5 // copy acc to vreg[9]
v_accvgpr_read_b32 v[vgprValuC+34], acc9 // copy acc to vreg[10]
v_accvgpr_read_b32 v[vgprValuC+35], acc13 // copy acc to vreg[11]
v_accvgpr_read_b32 v[vgprValuC+36], acc17 // copy acc to vreg[12]
v_accvgpr_read_b32 v[vgprValuC+37], acc21 // copy acc to vreg[13]
v_accvgpr_read_b32 v[vgprValuC+38], acc25 // copy acc to vreg[14]
v_accvgpr_read_b32 v[vgprValuC+39], acc29 // copy acc to vreg[15]
v_accvgpr_read_b32 v[vgprValuC+40], acc2 // copy acc to vreg[16]
v_accvgpr_read_b32 v[vgprValuC+41], acc6 // copy acc to vreg[17]
v_accvgpr_read_b32 v[vgprValuC+42], acc10 // copy acc to vreg[18]
v_accvgpr_read_b32 v[vgprValuC+43], acc14 // copy acc to vreg[19]
v_accvgpr_read_b32 v[vgprValuC+44], acc18 // copy acc to vreg[20]
v_accvgpr_read_b32 v[vgprValuC+45], acc22 // copy acc to vreg[21]
v_accvgpr_read_b32 v[vgprValuC+46], acc26 // copy acc to vreg[22]
v_accvgpr_read_b32 v[vgprValuC+47], acc30 // copy acc to vreg[23]
v_accvgpr_read_b32 v[vgprValuC+48], acc3 // copy acc to vreg[24]
v_accvgpr_read_b32 v[vgprValuC+49], acc7 // copy acc to vreg[25]
v_accvgpr_read_b32 v[vgprValuC+50], acc11 // copy acc to vreg[26]
v_accvgpr_read_b32 v[vgprValuC+51], acc15 // copy acc to vreg[27]
v_accvgpr_read_b32 v[vgprValuC+52], acc19 // copy acc to vreg[28]
v_accvgpr_read_b32 v[vgprValuC+53], acc23 // copy acc to vreg[29]
v_accvgpr_read_b32 v[vgprValuC+54], acc27 // copy acc to vreg[30]
v_accvgpr_read_b32 v[vgprValuC+55], acc31 // copy acc to vreg[31]
v_accvgpr_read_b32 v[vgprValuC+64], acc32 // copy acc to vreg[32]
v_accvgpr_read_b32 v[vgprValuC+65], acc36 // copy acc to vreg[33]
v_accvgpr_read_b32 v[vgprValuC+66], acc40 // copy acc to vreg[34]
v_accvgpr_read_b32 v[vgprValuC+67], acc44 // copy acc to vreg[35]
v_accvgpr_read_b32 v[vgprValuC+68], acc48 // copy acc to vreg[36]
v_accvgpr_read_b32 v[vgprValuC+69], acc52 // copy acc to vreg[37]
v_accvgpr_read_b32 v[vgprValuC+70], acc56 // copy acc to vreg[38]
v_accvgpr_read_b32 v[vgprValuC+71], acc60 // copy acc to vreg[39]
v_accvgpr_read_b32 v[vgprValuC+72], acc33 // copy acc to vreg[40]
v_accvgpr_read_b32 v[vgprValuC+73], acc37 // copy acc to vreg[41]
v_accvgpr_read_b32 v[vgprValuC+74], acc41 // copy acc to vreg[42]
v_accvgpr_read_b32 v[vgprValuC+75], acc45 // copy acc to vreg[43]
v_accvgpr_read_b32 v[vgprValuC+76], acc49 // copy acc to vreg[44]
v_accvgpr_read_b32 v[vgprValuC+77], acc53 // copy acc to vreg[45]
v_accvgpr_read_b32 v[vgprValuC+78], acc57 // copy acc to vreg[46]
v_accvgpr_read_b32 v[vgprValuC+79], acc61 // copy acc to vreg[47]
v_accvgpr_read_b32 v[vgprValuC+80], acc34 // copy acc to vreg[48]
v_accvgpr_read_b32 v[vgprValuC+81], acc38 // copy acc to vreg[49]
v_accvgpr_read_b32 v[vgprValuC+82], acc42 // copy acc to vreg[50]
v_accvgpr_read_b32 v[vgprValuC+83], acc46 // copy acc to vreg[51]
v_accvgpr_read_b32 v[vgprValuC+84], acc50 // copy acc to vreg[52]
v_accvgpr_read_b32 v[vgprValuC+85], acc54 // copy acc to vreg[53]
v_accvgpr_read_b32 v[vgprValuC+86], acc58 // copy acc to vreg[54]
v_accvgpr_read_b32 v[vgprValuC+87], acc62 // copy acc to vreg[55]
v_accvgpr_read_b32 v[vgprValuC+96], acc35 // copy acc to vreg[56]
v_accvgpr_read_b32 v[vgprValuC+97], acc39 // copy acc to vreg[57]
v_accvgpr_read_b32 v[vgprValuC+98], acc43 // copy acc to vreg[58]
v_accvgpr_read_b32 v[vgprValuC+99], acc47 // copy acc to vreg[59]
v_accvgpr_read_b32 v[vgprValuC+100], acc51 // copy acc to vreg[60]
v_accvgpr_read_b32 v[vgprValuC+101], acc55 // copy acc to vreg[61]
v_accvgpr_read_b32 v[vgprValuC+102], acc59 // copy acc to vreg[62]
v_accvgpr_read_b32 v[vgprValuC+103], acc63 // copy acc to vreg[63]
v_accvgpr_read_b32 v[vgprValuC+104], acc64 // copy acc to vreg[64]
v_accvgpr_read_b32 v[vgprValuC+105], acc68 // copy acc to vreg[65]
v_accvgpr_read_b32 v[vgprValuC+106], acc72 // copy acc to vreg[66]
v_accvgpr_read_b32 v[vgprValuC+107], acc76 // copy acc to vreg[67]
v_accvgpr_read_b32 v[vgprValuC+108], acc80 // copy acc to vreg[68]
v_accvgpr_read_b32 v[vgprValuC+109], acc84 // copy acc to vreg[69]
v_accvgpr_read_b32 v[vgprValuC+110], acc88 // copy acc to vreg[70]
v_accvgpr_read_b32 v[vgprValuC+111], acc92 // copy acc to vreg[71]
v_accvgpr_read_b32 v[vgprValuC+120], acc65 // copy acc to vreg[72]
v_accvgpr_read_b32 v[vgprValuC+121], acc69 // copy acc to vreg[73]
v_accvgpr_read_b32 v[vgprValuC+122], acc73 // copy acc to vreg[74]
v_accvgpr_read_b32 v[vgprValuC+123], acc77 // copy acc to vreg[75]
v_accvgpr_read_b32 v[vgprValuC+124], acc81 // copy acc to vreg[76]
v_accvgpr_read_b32 v[vgprValuC+125], acc85 // copy acc to vreg[77]
v_accvgpr_read_b32 v[vgprValuC+126], acc89 // copy acc to vreg[78]
v_accvgpr_read_b32 v[vgprValuC+127], acc93 // copy acc to vreg[79]
v_accvgpr_read_b32 v[vgprValuC+128], acc66 // copy acc to vreg[80]
v_accvgpr_read_b32 v[vgprValuC+129], acc70 // copy acc to vreg[81]
v_accvgpr_read_b32 v[vgprValuC+130], acc74 // copy acc to vreg[82]
v_accvgpr_read_b32 v[vgprValuC+131], acc78 // copy acc to vreg[83]
v_accvgpr_read_b32 v[vgprValuC+132], acc82 // copy acc to vreg[84]
v_accvgpr_read_b32 v[vgprValuC+133], acc86 // copy acc to vreg[85]
v_accvgpr_read_b32 v[vgprValuC+134], acc90 // copy acc to vreg[86]
v_accvgpr_read_b32 v[vgprValuC+135], acc94 // copy acc to vreg[87]
v_accvgpr_read_b32 v[vgprValuC+136], acc67 // copy acc to vreg[88]
v_accvgpr_read_b32 v[vgprValuC+137], acc71 // copy acc to vreg[89]
v_accvgpr_read_b32 v[vgprValuC+138], acc75 // copy acc to vreg[90]
v_accvgpr_read_b32 v[vgprValuC+139], acc79 // copy acc to vreg[91]
v_accvgpr_read_b32 v[vgprValuC+140], acc83 // copy acc to vreg[92]
v_accvgpr_read_b32 v[vgprValuC+141], acc87 // copy acc to vreg[93]
v_accvgpr_read_b32 v[vgprValuC+142], acc91 // copy acc to vreg[94]
v_accvgpr_read_b32 v[vgprValuC+143], acc95 // copy acc to vreg[95]
v_accvgpr_read_b32 v[vgprValuC+152], acc96 // copy acc to vreg[96]
v_accvgpr_read_b32 v[vgprValuC+153], acc100 // copy acc to vreg[97]
v_accvgpr_read_b32 v[vgprValuC+154], acc104 // copy acc to vreg[98]
v_accvgpr_read_b32 v[vgprValuC+155], acc108 // copy acc to vreg[99]
v_accvgpr_read_b32 v[vgprValuC+156], acc112 // copy acc to vreg[100]
v_accvgpr_read_b32 v[vgprValuC+157], acc116 // copy acc to vreg[101]
v_accvgpr_read_b32 v[vgprValuC+158], acc120 // copy acc to vreg[102]
v_accvgpr_read_b32 v[vgprValuC+159], acc124 // copy acc to vreg[103]
v_accvgpr_read_b32 v[vgprValuC+160], acc97 // copy acc to vreg[104]
v_accvgpr_read_b32 v[vgprValuC+161], acc101 // copy acc to vreg[105]
v_accvgpr_read_b32 v[vgprValuC+162], acc105 // copy acc to vreg[106]
v_accvgpr_read_b32 v[vgprValuC+163], acc109 // copy acc to vreg[107]
v_accvgpr_read_b32 v[vgprValuC+164], acc113 // copy acc to vreg[108]
v_accvgpr_read_b32 v[vgprValuC+165], acc117 // copy acc to vreg[109]
v_accvgpr_read_b32 v[vgprValuC+166], acc121 // copy acc to vreg[110]
v_accvgpr_read_b32 v[vgprValuC+167], acc125 // copy acc to vreg[111]
v_accvgpr_read_b32 v[vgprValuC+168], acc98 // copy acc to vreg[112]
v_accvgpr_read_b32 v[vgprValuC+169], acc102 // copy acc to vreg[113]
v_accvgpr_read_b32 v[vgprValuC+170], acc106 // copy acc to vreg[114]
v_accvgpr_read_b32 v[vgprValuC+171], acc110 // copy acc to vreg[115]
v_accvgpr_read_b32 v[vgprValuC+172], acc114 // copy acc to vreg[116]
v_accvgpr_read_b32 v[vgprValuC+173], acc118 // copy acc to vreg[117]
v_accvgpr_read_b32 v[vgprValuC+174], acc122 // copy acc to vreg[118]
v_accvgpr_read_b32 v[vgprValuC+175], acc126 // copy acc to vreg[119]
v_accvgpr_read_b32 v[vgprValuC+184], acc99 // copy acc to vreg[120]
v_accvgpr_read_b32 v[vgprValuC+185], acc103 // copy acc to vreg[121]
v_accvgpr_read_b32 v[vgprValuC+186], acc107 // copy acc to vreg[122]
v_accvgpr_read_b32 v[vgprValuC+187], acc111 // copy acc to vreg[123]
v_accvgpr_read_b32 v[vgprValuC+188], acc115 // copy acc to vreg[124]
v_accvgpr_read_b32 v[vgprValuC+189], acc119 // copy acc to vreg[125]
v_accvgpr_read_b32 v[vgprValuC+190], acc123 // copy acc to vreg[126]
v_accvgpr_read_b32 v[vgprValuC+191], acc127 // copy acc to vreg[127]
v_accvgpr_read_b32 v[vgprValuC+192], acc128 // copy acc to vreg[128]
v_accvgpr_read_b32 v[vgprValuC+193], acc132 // copy acc to vreg[129]
v_accvgpr_read_b32 v[vgprValuC+194], acc136 // copy acc to vreg[130]
v_accvgpr_read_b32 v[vgprValuC+195], acc140 // copy acc to vreg[131]
v_accvgpr_read_b32 v[vgprValuC+196], acc144 // copy acc to vreg[132]
v_accvgpr_read_b32 v[vgprValuC+197], acc148 // copy acc to vreg[133]
v_accvgpr_read_b32 v[vgprValuC+198], acc152 // copy acc to vreg[134]
v_accvgpr_read_b32 v[vgprValuC+199], acc156 // copy acc to vreg[135]
v_accvgpr_read_b32 v[vgprValuC+208], acc129 // copy acc to vreg[136]
v_accvgpr_read_b32 v[vgprValuC+209], acc133 // copy acc to vreg[137]
v_accvgpr_read_b32 v[vgprValuC+210], acc137 // copy acc to vreg[138]
v_accvgpr_read_b32 v[vgprValuC+211], acc141 // copy acc to vreg[139]
v_accvgpr_read_b32 v[vgprValuC+212], acc145 // copy acc to vreg[140]
v_accvgpr_read_b32 v[vgprValuC+213], acc149 // copy acc to vreg[141]
v_accvgpr_read_b32 v[vgprValuC+214], acc153 // copy acc to vreg[142]
v_accvgpr_read_b32 v[vgprValuC+215], acc157 // copy acc to vreg[143]
v_accvgpr_read_b32 v[vgprValuC+216], acc130 // copy acc to vreg[144]
v_accvgpr_read_b32 v[vgprValuC+217], acc134 // copy acc to vreg[145]
v_accvgpr_read_b32 v[vgprValuC+218], acc138 // copy acc to vreg[146]
v_accvgpr_read_b32 v[vgprValuC+219], acc142 // copy acc to vreg[147]
v_accvgpr_read_b32 v[vgprValuC+220], acc146 // copy acc to vreg[148]
v_accvgpr_read_b32 v[vgprValuC+221], acc150 // copy acc to vreg[149]
v_accvgpr_read_b32 v[vgprValuC+222], acc154 // copy acc to vreg[150]
v_accvgpr_read_b32 v[vgprValuC+223], acc158 // copy acc to vreg[151]
v_accvgpr_read_b32 v[vgprValuC+224], acc131 // copy acc to vreg[152]
v_accvgpr_read_b32 v[vgprValuC+225], acc135 // copy acc to vreg[153]
v_accvgpr_read_b32 v[vgprValuC+226], acc139 // copy acc to vreg[154]
v_accvgpr_read_b32 v[vgprValuC+227], acc143 // copy acc to vreg[155]
v_accvgpr_read_b32 v[vgprValuC+228], acc147 // copy acc to vreg[156]
v_accvgpr_read_b32 v[vgprValuC+229], acc151 // copy acc to vreg[157]
v_accvgpr_read_b32 v[vgprValuC+230], acc155 // copy acc to vreg[158]
v_accvgpr_read_b32 v[vgprValuC+231], acc159 // copy acc to vreg[159]
s_nop 1                                            // 2 wait states required before reading vgpr

/* rC *= alpha batchElements=[(0, 0, 0, 0), (0, 0, 1, 0), (0, 0, 2, 0), (0, 0, 3, 0), (1, 0, 0, 0), (1, 0, 1, 0), (1, 0, 2, 0), (1, 0, 3, 0), (2, 0, 0, 0), (2, 0, 1, 0), (2, 0, 2, 0), (2, 0, 3, 0), (3, 0, 0, 0), (3, 0, 1, 0), (3, 0, 2, 0), (3, 0, 3, 0), (4, 0, 0, 0), (4, 0, 1, 0), (4, 0, 2, 0), (4, 0, 3, 0)] */
v_mul_f32 v[vgprValuC+16], s[sgprAlpha], v[vgprValuC+16] // *= alpha
v_mul_f32 v[vgprValuC+17], s[sgprAlpha], v[vgprValuC+17] // *= alpha
	;; [unrolled: 1-line block ×160, first 2 shown]
s_waitcnt vmcnt(0)                                 // wait C

/* apply mask, calc new C and issue writes */
v_mov_b32 v10, 0x207                               // flag for Nan and +/- inf
v_mov_b32 v8, 0x47600000                           // save 57344.0f as max for clipping
v_mov_b32 v9, 0xC7600000                           // save -57344`.0f as min for clipping
V_cvt_pk_f32_bf8 v[6:7], v12    // convert two f8 in lo_16 to f32
_v_mac_f32 v[vgprValuC+16], v6, s[sgprBeta]        // finalSum = sum*alpha + C*beta
_v_mac_f32 v[vgprValuC+17], v7, s[sgprBeta]        // finalSum = sum*alpha + C*beta
V_cvt_pk_f32_bf8 v[6:7], v12  src0_sel:WORD_1  // convert two f8 in hi_16 to f32
_v_mac_f32 v[vgprValuC+18], v6, s[sgprBeta]        // finalSum = sum*alpha + C*beta
_v_mac_f32 v[vgprValuC+19], v7, s[sgprBeta]        // finalSum = sum*alpha + C*beta
V_cvt_pk_f32_bf8 v[6:7], v13    // convert two f8 in lo_16 to f32
_v_mac_f32 v[vgprValuC+20], v6, s[sgprBeta]        // finalSum = sum*alpha + C*beta
_v_mac_f32 v[vgprValuC+21], v7, s[sgprBeta]        // finalSum = sum*alpha + C*beta
V_cvt_pk_f32_bf8 v[6:7], v13  src0_sel:WORD_1  // convert two f8 in hi_16 to f32
_v_mac_f32 v[vgprValuC+22], v6, s[sgprBeta]        // finalSum = sum*alpha + C*beta
_v_mac_f32 v[vgprValuC+23], v7, s[sgprBeta]        // finalSum = sum*alpha + C*beta
v_cmp_class_f32 s[54:55], v[vgprValuC+16], v10     // check NaN and +/-INF
v_med3_f32 v6, v[vgprValuC+16], v8, v9             // Clipping f32 value if exceeds the limit
v_cndmask_b32 v6, v6, v[vgprValuC+16], s[54:55]    // 
v_cmp_class_f32 s[54:55], v[vgprValuC+17], v10     // check NaN and +/-INF
v_med3_f32 v7, v[vgprValuC+17], v8, v9             // Clipping f32 value if exceeds the limit
v_cndmask_b32 v7, v7, v[vgprValuC+17], s[54:55]    // 
v_cvt_pk_bf8_f32  v16, v6, v7 op_sel:[0,0,0]       // convert two f32 accumulated values to fp8 and save it to lo_16[0:15]
v_cmp_class_f32 s[54:55], v[vgprValuC+18], v10     // check NaN and +/-INF
v_med3_f32 v6, v[vgprValuC+18], v8, v9             // Clipping f32 value if exceeds the limit
v_cndmask_b32 v6, v6, v[vgprValuC+18], s[54:55]    // 
v_cmp_class_f32 s[54:55], v[vgprValuC+19], v10     // check NaN and +/-INF
v_med3_f32 v7, v[vgprValuC+19], v8, v9             // Clipping f32 value if exceeds the limit
v_cndmask_b32 v7, v7, v[vgprValuC+19], s[54:55]    // 
v_cvt_pk_bf8_f32  v16, v6, v7 op_sel:[0,0,1]       // convert two f32 accumulated values to fp8 and save it to hi_16[16:31]
v_cmp_class_f32 s[54:55], v[vgprValuC+20], v10     // check NaN and +/-INF
v_med3_f32 v6, v[vgprValuC+20], v8, v9             // Clipping f32 value if exceeds the limit
v_cndmask_b32 v6, v6, v[vgprValuC+20], s[54:55]    // 
v_cmp_class_f32 s[54:55], v[vgprValuC+21], v10     // check NaN and +/-INF
v_med3_f32 v7, v[vgprValuC+21], v8, v9             // Clipping f32 value if exceeds the limit
v_cndmask_b32 v7, v7, v[vgprValuC+21], s[54:55]    // 
v_cvt_pk_bf8_f32  v17, v6, v7 op_sel:[0,0,0]       // convert two f32 accumulated values to fp8 and save it to lo_16[0:15]
v_cmp_class_f32 s[54:55], v[vgprValuC+22], v10     // check NaN and +/-INF
v_med3_f32 v6, v[vgprValuC+22], v8, v9             // Clipping f32 value if exceeds the limit
v_cndmask_b32 v6, v6, v[vgprValuC+22], s[54:55]    // 
v_cmp_class_f32 s[54:55], v[vgprValuC+23], v10     // check NaN and +/-INF
v_med3_f32 v7, v[vgprValuC+23], v8, v9             // Clipping f32 value if exceeds the limit
v_cndmask_b32 v7, v7, v[vgprValuC+23], s[54:55]    // 
v_cvt_pk_bf8_f32  v17, v6, v7 op_sel:[0,0,1]       // convert two f32 accumulated values to fp8 and save it to hi_16[16:31]
_buffer_store_b64 v[16:17], v11, s[sgprSrdD:sgprSrdD+3], 0, offen, offset:0,  sc0 sc1 // store D
V_cvt_pk_f32_bf8 v[6:7], v24    // convert two f8 in lo_16 to f32
_v_mac_f32 v[vgprValuC+32], v6, s[sgprBeta]        // finalSum = sum*alpha + C*beta
_v_mac_f32 v[vgprValuC+33], v7, s[sgprBeta]        // finalSum = sum*alpha + C*beta
V_cvt_pk_f32_bf8 v[6:7], v24  src0_sel:WORD_1  // convert two f8 in hi_16 to f32
_v_mac_f32 v[vgprValuC+34], v6, s[sgprBeta]        // finalSum = sum*alpha + C*beta
_v_mac_f32 v[vgprValuC+35], v7, s[sgprBeta]        // finalSum = sum*alpha + C*beta
V_cvt_pk_f32_bf8 v[6:7], v25    // convert two f8 in lo_16 to f32
_v_mac_f32 v[vgprValuC+36], v6, s[sgprBeta]        // finalSum = sum*alpha + C*beta
_v_mac_f32 v[vgprValuC+37], v7, s[sgprBeta]        // finalSum = sum*alpha + C*beta
V_cvt_pk_f32_bf8 v[6:7], v25  src0_sel:WORD_1  // convert two f8 in hi_16 to f32
_v_mac_f32 v[vgprValuC+38], v6, s[sgprBeta]        // finalSum = sum*alpha + C*beta
_v_mac_f32 v[vgprValuC+39], v7, s[sgprBeta]        // finalSum = sum*alpha + C*beta
v_cmp_class_f32 s[54:55], v[vgprValuC+32], v10     // check NaN and +/-INF
v_med3_f32 v6, v[vgprValuC+32], v8, v9             // Clipping f32 value if exceeds the limit
v_cndmask_b32 v6, v6, v[vgprValuC+32], s[54:55]    // 
v_cmp_class_f32 s[54:55], v[vgprValuC+33], v10     // check NaN and +/-INF
v_med3_f32 v7, v[vgprValuC+33], v8, v9             // Clipping f32 value if exceeds the limit
v_cndmask_b32 v7, v7, v[vgprValuC+33], s[54:55]    // 
v_cvt_pk_bf8_f32  v32, v6, v7 op_sel:[0,0,0]       // convert two f32 accumulated values to fp8 and save it to lo_16[0:15]
v_cmp_class_f32 s[54:55], v[vgprValuC+34], v10     // check NaN and +/-INF
v_med3_f32 v6, v[vgprValuC+34], v8, v9             // Clipping f32 value if exceeds the limit
v_cndmask_b32 v6, v6, v[vgprValuC+34], s[54:55]    // 
v_cmp_class_f32 s[54:55], v[vgprValuC+35], v10     // check NaN and +/-INF
v_med3_f32 v7, v[vgprValuC+35], v8, v9             // Clipping f32 value if exceeds the limit
v_cndmask_b32 v7, v7, v[vgprValuC+35], s[54:55]    // 
v_cvt_pk_bf8_f32  v32, v6, v7 op_sel:[0,0,1]       // convert two f32 accumulated values to fp8 and save it to hi_16[16:31]
v_cmp_class_f32 s[54:55], v[vgprValuC+36], v10     // check NaN and +/-INF
v_med3_f32 v6, v[vgprValuC+36], v8, v9             // Clipping f32 value if exceeds the limit
v_cndmask_b32 v6, v6, v[vgprValuC+36], s[54:55]    // 
v_cmp_class_f32 s[54:55], v[vgprValuC+37], v10     // check NaN and +/-INF
v_med3_f32 v7, v[vgprValuC+37], v8, v9             // Clipping f32 value if exceeds the limit
v_cndmask_b32 v7, v7, v[vgprValuC+37], s[54:55]    // 
v_cvt_pk_bf8_f32  v33, v6, v7 op_sel:[0,0,0]       // convert two f32 accumulated values to fp8 and save it to lo_16[0:15]
v_cmp_class_f32 s[54:55], v[vgprValuC+38], v10     // check NaN and +/-INF
v_med3_f32 v6, v[vgprValuC+38], v8, v9             // Clipping f32 value if exceeds the limit
v_cndmask_b32 v6, v6, v[vgprValuC+38], s[54:55]    // 
v_cmp_class_f32 s[54:55], v[vgprValuC+39], v10     // check NaN and +/-INF
v_med3_f32 v7, v[vgprValuC+39], v8, v9             // Clipping f32 value if exceeds the limit
v_cndmask_b32 v7, v7, v[vgprValuC+39], s[54:55]    // 
v_cvt_pk_bf8_f32  v33, v6, v7 op_sel:[0,0,1]       // convert two f32 accumulated values to fp8 and save it to hi_16[16:31]
_buffer_store_b64 v[32:33], v14, s[sgprSrdD:sgprSrdD+3], 0, offen, offset:0,  sc0 sc1 // store D
	;; [unrolled: 41-line block ×7, first 2 shown]
V_cvt_pk_f32_bf8 v[6:7], v90    // convert two f8 in lo_16 to f32
_v_mac_f32 v[vgprValuC+96], v6, s[sgprBeta]        // finalSum = sum*alpha + C*beta
_v_mac_f32 v[vgprValuC+97], v7, s[sgprBeta]        // finalSum = sum*alpha + C*beta
V_cvt_pk_f32_bf8 v[6:7], v90  src0_sel:WORD_1  // convert two f8 in hi_16 to f32
_v_mac_f32 v[vgprValuC+98], v6, s[sgprBeta]        // finalSum = sum*alpha + C*beta
_v_mac_f32 v[vgprValuC+99], v7, s[sgprBeta]        // finalSum = sum*alpha + C*beta
V_cvt_pk_f32_bf8 v[6:7], v91    // convert two f8 in lo_16 to f32
_v_mac_f32 v[vgprValuC+100], v6, s[sgprBeta]       // finalSum = sum*alpha + C*beta
_v_mac_f32 v[vgprValuC+101], v7, s[sgprBeta]       // finalSum = sum*alpha + C*beta
V_cvt_pk_f32_bf8 v[6:7], v91  src0_sel:WORD_1  // convert two f8 in hi_16 to f32
_v_mac_f32 v[vgprValuC+102], v6, s[sgprBeta]       // finalSum = sum*alpha + C*beta
_v_mac_f32 v[vgprValuC+103], v7, s[sgprBeta]       // finalSum = sum*alpha + C*beta
v_cmp_class_f32 s[54:55], v[vgprValuC+96], v10     // check NaN and +/-INF
v_med3_f32 v6, v[vgprValuC+96], v8, v9             // Clipping f32 value if exceeds the limit
v_cndmask_b32 v6, v6, v[vgprValuC+96], s[54:55]    // 
v_cmp_class_f32 s[54:55], v[vgprValuC+97], v10     // check NaN and +/-INF
v_med3_f32 v7, v[vgprValuC+97], v8, v9             // Clipping f32 value if exceeds the limit
v_cndmask_b32 v7, v7, v[vgprValuC+97], s[54:55]    // 
v_cvt_pk_bf8_f32  v96, v6, v7 op_sel:[0,0,0]       // convert two f32 accumulated values to fp8 and save it to lo_16[0:15]
v_cmp_class_f32 s[54:55], v[vgprValuC+98], v10     // check NaN and +/-INF
v_med3_f32 v6, v[vgprValuC+98], v8, v9             // Clipping f32 value if exceeds the limit
v_cndmask_b32 v6, v6, v[vgprValuC+98], s[54:55]    // 
v_cmp_class_f32 s[54:55], v[vgprValuC+99], v10     // check NaN and +/-INF
v_med3_f32 v7, v[vgprValuC+99], v8, v9             // Clipping f32 value if exceeds the limit
v_cndmask_b32 v7, v7, v[vgprValuC+99], s[54:55]    // 
v_cvt_pk_bf8_f32  v96, v6, v7 op_sel:[0,0,1]       // convert two f32 accumulated values to fp8 and save it to hi_16[16:31]
v_cmp_class_f32 s[54:55], v[vgprValuC+100], v10    // check NaN and +/-INF
v_med3_f32 v6, v[vgprValuC+100], v8, v9            // Clipping f32 value if exceeds the limit
v_cndmask_b32 v6, v6, v[vgprValuC+100], s[54:55]   // 
v_cmp_class_f32 s[54:55], v[vgprValuC+101], v10    // check NaN and +/-INF
v_med3_f32 v7, v[vgprValuC+101], v8, v9            // Clipping f32 value if exceeds the limit
v_cndmask_b32 v7, v7, v[vgprValuC+101], s[54:55]   // 
v_cvt_pk_bf8_f32  v97, v6, v7 op_sel:[0,0,0]       // convert two f32 accumulated values to fp8 and save it to lo_16[0:15]
v_cmp_class_f32 s[54:55], v[vgprValuC+102], v10    // check NaN and +/-INF
v_med3_f32 v6, v[vgprValuC+102], v8, v9            // Clipping f32 value if exceeds the limit
v_cndmask_b32 v6, v6, v[vgprValuC+102], s[54:55]   // 
v_cmp_class_f32 s[54:55], v[vgprValuC+103], v10    // check NaN and +/-INF
v_med3_f32 v7, v[vgprValuC+103], v8, v9            // Clipping f32 value if exceeds the limit
v_cndmask_b32 v7, v7, v[vgprValuC+103], s[54:55]   // 
v_cvt_pk_bf8_f32  v97, v6, v7 op_sel:[0,0,1]       // convert two f32 accumulated values to fp8 and save it to hi_16[16:31]
_buffer_store_b64 v[96:97], v88, s[sgprSrdD:sgprSrdD+3], 0, offen, offset:0,  sc0 sc1 // store D
V_cvt_pk_f32_bf8 v[6:7], v92    // convert two f8 in lo_16 to f32
_v_mac_f32 v[vgprValuC+104], v6, s[sgprBeta]       // finalSum = sum*alpha + C*beta
_v_mac_f32 v[vgprValuC+105], v7, s[sgprBeta]       // finalSum = sum*alpha + C*beta
V_cvt_pk_f32_bf8 v[6:7], v92  src0_sel:WORD_1  // convert two f8 in hi_16 to f32
_v_mac_f32 v[vgprValuC+106], v6, s[sgprBeta]       // finalSum = sum*alpha + C*beta
_v_mac_f32 v[vgprValuC+107], v7, s[sgprBeta]       // finalSum = sum*alpha + C*beta
V_cvt_pk_f32_bf8 v[6:7], v93    // convert two f8 in lo_16 to f32
_v_mac_f32 v[vgprValuC+108], v6, s[sgprBeta]       // finalSum = sum*alpha + C*beta
_v_mac_f32 v[vgprValuC+109], v7, s[sgprBeta]       // finalSum = sum*alpha + C*beta
V_cvt_pk_f32_bf8 v[6:7], v93  src0_sel:WORD_1  // convert two f8 in hi_16 to f32
_v_mac_f32 v[vgprValuC+110], v6, s[sgprBeta]       // finalSum = sum*alpha + C*beta
_v_mac_f32 v[vgprValuC+111], v7, s[sgprBeta]       // finalSum = sum*alpha + C*beta
v_cmp_class_f32 s[54:55], v[vgprValuC+104], v10    // check NaN and +/-INF
v_med3_f32 v6, v[vgprValuC+104], v8, v9            // Clipping f32 value if exceeds the limit
v_cndmask_b32 v6, v6, v[vgprValuC+104], s[54:55]   // 
v_cmp_class_f32 s[54:55], v[vgprValuC+105], v10    // check NaN and +/-INF
v_med3_f32 v7, v[vgprValuC+105], v8, v9            // Clipping f32 value if exceeds the limit
v_cndmask_b32 v7, v7, v[vgprValuC+105], s[54:55]   // 
v_cvt_pk_bf8_f32  v104, v6, v7 op_sel:[0,0,0]      // convert two f32 accumulated values to fp8 and save it to lo_16[0:15]
v_cmp_class_f32 s[54:55], v[vgprValuC+106], v10    // check NaN and +/-INF
v_med3_f32 v6, v[vgprValuC+106], v8, v9            // Clipping f32 value if exceeds the limit
v_cndmask_b32 v6, v6, v[vgprValuC+106], s[54:55]   // 
v_cmp_class_f32 s[54:55], v[vgprValuC+107], v10    // check NaN and +/-INF
v_med3_f32 v7, v[vgprValuC+107], v8, v9            // Clipping f32 value if exceeds the limit
v_cndmask_b32 v7, v7, v[vgprValuC+107], s[54:55]   // 
v_cvt_pk_bf8_f32  v104, v6, v7 op_sel:[0,0,1]      // convert two f32 accumulated values to fp8 and save it to hi_16[16:31]
v_cmp_class_f32 s[54:55], v[vgprValuC+108], v10    // check NaN and +/-INF
v_med3_f32 v6, v[vgprValuC+108], v8, v9            // Clipping f32 value if exceeds the limit
v_cndmask_b32 v6, v6, v[vgprValuC+108], s[54:55]   // 
v_cmp_class_f32 s[54:55], v[vgprValuC+109], v10    // check NaN and +/-INF
v_med3_f32 v7, v[vgprValuC+109], v8, v9            // Clipping f32 value if exceeds the limit
v_cndmask_b32 v7, v7, v[vgprValuC+109], s[54:55]   // 
v_cvt_pk_bf8_f32  v105, v6, v7 op_sel:[0,0,0]      // convert two f32 accumulated values to fp8 and save it to lo_16[0:15]
v_cmp_class_f32 s[54:55], v[vgprValuC+110], v10    // check NaN and +/-INF
v_med3_f32 v6, v[vgprValuC+110], v8, v9            // Clipping f32 value if exceeds the limit
v_cndmask_b32 v6, v6, v[vgprValuC+110], s[54:55]   // 
v_cmp_class_f32 s[54:55], v[vgprValuC+111], v10    // check NaN and +/-INF
v_med3_f32 v7, v[vgprValuC+111], v8, v9            // Clipping f32 value if exceeds the limit
v_cndmask_b32 v7, v7, v[vgprValuC+111], s[54:55]   // 
v_cvt_pk_bf8_f32  v105, v6, v7 op_sel:[0,0,1]      // convert two f32 accumulated values to fp8 and save it to hi_16[16:31]
_buffer_store_b64 v[104:105], v89, s[sgprSrdD:sgprSrdD+3], 0, offen, offset:0,  sc0 sc1 // store D
V_cvt_pk_f32_bf8 v[6:7], v112    // convert two f8 in lo_16 to f32
_v_mac_f32 v[vgprValuC+120], v6, s[sgprBeta]       // finalSum = sum*alpha + C*beta
_v_mac_f32 v[vgprValuC+121], v7, s[sgprBeta]       // finalSum = sum*alpha + C*beta
V_cvt_pk_f32_bf8 v[6:7], v112  src0_sel:WORD_1  // convert two f8 in hi_16 to f32
_v_mac_f32 v[vgprValuC+122], v6, s[sgprBeta]       // finalSum = sum*alpha + C*beta
_v_mac_f32 v[vgprValuC+123], v7, s[sgprBeta]       // finalSum = sum*alpha + C*beta
V_cvt_pk_f32_bf8 v[6:7], v113    // convert two f8 in lo_16 to f32
_v_mac_f32 v[vgprValuC+124], v6, s[sgprBeta]       // finalSum = sum*alpha + C*beta
_v_mac_f32 v[vgprValuC+125], v7, s[sgprBeta]       // finalSum = sum*alpha + C*beta
V_cvt_pk_f32_bf8 v[6:7], v113  src0_sel:WORD_1  // convert two f8 in hi_16 to f32
_v_mac_f32 v[vgprValuC+126], v6, s[sgprBeta]       // finalSum = sum*alpha + C*beta
_v_mac_f32 v[vgprValuC+127], v7, s[sgprBeta]       // finalSum = sum*alpha + C*beta
v_cmp_class_f32 s[54:55], v[vgprValuC+120], v10    // check NaN and +/-INF
v_med3_f32 v6, v[vgprValuC+120], v8, v9            // Clipping f32 value if exceeds the limit
v_cndmask_b32 v6, v6, v[vgprValuC+120], s[54:55]   // 
v_cmp_class_f32 s[54:55], v[vgprValuC+121], v10    // check NaN and +/-INF
v_med3_f32 v7, v[vgprValuC+121], v8, v9            // Clipping f32 value if exceeds the limit
v_cndmask_b32 v7, v7, v[vgprValuC+121], s[54:55]   // 
v_cvt_pk_bf8_f32  v120, v6, v7 op_sel:[0,0,0]      // convert two f32 accumulated values to fp8 and save it to lo_16[0:15]
v_cmp_class_f32 s[54:55], v[vgprValuC+122], v10    // check NaN and +/-INF
v_med3_f32 v6, v[vgprValuC+122], v8, v9            // Clipping f32 value if exceeds the limit
v_cndmask_b32 v6, v6, v[vgprValuC+122], s[54:55]   // 
v_cmp_class_f32 s[54:55], v[vgprValuC+123], v10    // check NaN and +/-INF
v_med3_f32 v7, v[vgprValuC+123], v8, v9            // Clipping f32 value if exceeds the limit
v_cndmask_b32 v7, v7, v[vgprValuC+123], s[54:55]   // 
v_cvt_pk_bf8_f32  v120, v6, v7 op_sel:[0,0,1]      // convert two f32 accumulated values to fp8 and save it to hi_16[16:31]
v_cmp_class_f32 s[54:55], v[vgprValuC+124], v10    // check NaN and +/-INF
v_med3_f32 v6, v[vgprValuC+124], v8, v9            // Clipping f32 value if exceeds the limit
v_cndmask_b32 v6, v6, v[vgprValuC+124], s[54:55]   // 
v_cmp_class_f32 s[54:55], v[vgprValuC+125], v10    // check NaN and +/-INF
v_med3_f32 v7, v[vgprValuC+125], v8, v9            // Clipping f32 value if exceeds the limit
v_cndmask_b32 v7, v7, v[vgprValuC+125], s[54:55]   // 
v_cvt_pk_bf8_f32  v121, v6, v7 op_sel:[0,0,0]      // convert two f32 accumulated values to fp8 and save it to lo_16[0:15]
v_cmp_class_f32 s[54:55], v[vgprValuC+126], v10    // check NaN and +/-INF
v_med3_f32 v6, v[vgprValuC+126], v8, v9            // Clipping f32 value if exceeds the limit
v_cndmask_b32 v6, v6, v[vgprValuC+126], s[54:55]   // 
v_cmp_class_f32 s[54:55], v[vgprValuC+127], v10    // check NaN and +/-INF
v_med3_f32 v7, v[vgprValuC+127], v8, v9            // Clipping f32 value if exceeds the limit
v_cndmask_b32 v7, v7, v[vgprValuC+127], s[54:55]   // 
v_cvt_pk_bf8_f32  v121, v6, v7 op_sel:[0,0,1]      // convert two f32 accumulated values to fp8 and save it to hi_16[16:31]
_buffer_store_b64 v[120:121], v94, s[sgprSrdD:sgprSrdD+3], 0, offen, offset:0,  sc0 sc1 // store D
V_cvt_pk_f32_bf8 v[6:7], v114    // convert two f8 in lo_16 to f32
_v_mac_f32 v[vgprValuC+128], v6, s[sgprBeta]       // finalSum = sum*alpha + C*beta
_v_mac_f32 v[vgprValuC+129], v7, s[sgprBeta]       // finalSum = sum*alpha + C*beta
V_cvt_pk_f32_bf8 v[6:7], v114  src0_sel:WORD_1  // convert two f8 in hi_16 to f32
_v_mac_f32 v[vgprValuC+130], v6, s[sgprBeta]       // finalSum = sum*alpha + C*beta
_v_mac_f32 v[vgprValuC+131], v7, s[sgprBeta]       // finalSum = sum*alpha + C*beta
V_cvt_pk_f32_bf8 v[6:7], v115    // convert two f8 in lo_16 to f32
_v_mac_f32 v[vgprValuC+132], v6, s[sgprBeta]       // finalSum = sum*alpha + C*beta
_v_mac_f32 v[vgprValuC+133], v7, s[sgprBeta]       // finalSum = sum*alpha + C*beta
V_cvt_pk_f32_bf8 v[6:7], v115  src0_sel:WORD_1  // convert two f8 in hi_16 to f32
_v_mac_f32 v[vgprValuC+134], v6, s[sgprBeta]       // finalSum = sum*alpha + C*beta
_v_mac_f32 v[vgprValuC+135], v7, s[sgprBeta]       // finalSum = sum*alpha + C*beta
v_cmp_class_f32 s[54:55], v[vgprValuC+128], v10    // check NaN and +/-INF
v_med3_f32 v6, v[vgprValuC+128], v8, v9            // Clipping f32 value if exceeds the limit
v_cndmask_b32 v6, v6, v[vgprValuC+128], s[54:55]   // 
v_cmp_class_f32 s[54:55], v[vgprValuC+129], v10    // check NaN and +/-INF
v_med3_f32 v7, v[vgprValuC+129], v8, v9            // Clipping f32 value if exceeds the limit
v_cndmask_b32 v7, v7, v[vgprValuC+129], s[54:55]   // 
v_cvt_pk_bf8_f32  v128, v6, v7 op_sel:[0,0,0]      // convert two f32 accumulated values to fp8 and save it to lo_16[0:15]
v_cmp_class_f32 s[54:55], v[vgprValuC+130], v10    // check NaN and +/-INF
v_med3_f32 v6, v[vgprValuC+130], v8, v9            // Clipping f32 value if exceeds the limit
v_cndmask_b32 v6, v6, v[vgprValuC+130], s[54:55]   // 
v_cmp_class_f32 s[54:55], v[vgprValuC+131], v10    // check NaN and +/-INF
v_med3_f32 v7, v[vgprValuC+131], v8, v9            // Clipping f32 value if exceeds the limit
v_cndmask_b32 v7, v7, v[vgprValuC+131], s[54:55]   // 
v_cvt_pk_bf8_f32  v128, v6, v7 op_sel:[0,0,1]      // convert two f32 accumulated values to fp8 and save it to hi_16[16:31]
v_cmp_class_f32 s[54:55], v[vgprValuC+132], v10    // check NaN and +/-INF
v_med3_f32 v6, v[vgprValuC+132], v8, v9            // Clipping f32 value if exceeds the limit
v_cndmask_b32 v6, v6, v[vgprValuC+132], s[54:55]   // 
v_cmp_class_f32 s[54:55], v[vgprValuC+133], v10    // check NaN and +/-INF
v_med3_f32 v7, v[vgprValuC+133], v8, v9            // Clipping f32 value if exceeds the limit
v_cndmask_b32 v7, v7, v[vgprValuC+133], s[54:55]   // 
v_cvt_pk_bf8_f32  v129, v6, v7 op_sel:[0,0,0]      // convert two f32 accumulated values to fp8 and save it to lo_16[0:15]
v_cmp_class_f32 s[54:55], v[vgprValuC+134], v10    // check NaN and +/-INF
v_med3_f32 v6, v[vgprValuC+134], v8, v9            // Clipping f32 value if exceeds the limit
v_cndmask_b32 v6, v6, v[vgprValuC+134], s[54:55]   // 
v_cmp_class_f32 s[54:55], v[vgprValuC+135], v10    // check NaN and +/-INF
v_med3_f32 v7, v[vgprValuC+135], v8, v9            // Clipping f32 value if exceeds the limit
v_cndmask_b32 v7, v7, v[vgprValuC+135], s[54:55]   // 
v_cvt_pk_bf8_f32  v129, v6, v7 op_sel:[0,0,1]      // convert two f32 accumulated values to fp8 and save it to hi_16[16:31]
_buffer_store_b64 v[128:129], v95, s[sgprSrdD:sgprSrdD+3], 0, offen, offset:0,  sc0 sc1 // store D
V_cvt_pk_f32_bf8 v[6:7], v118    // convert two f8 in lo_16 to f32
_v_mac_f32 v[vgprValuC+136], v6, s[sgprBeta]       // finalSum = sum*alpha + C*beta
_v_mac_f32 v[vgprValuC+137], v7, s[sgprBeta]       // finalSum = sum*alpha + C*beta
V_cvt_pk_f32_bf8 v[6:7], v118  src0_sel:WORD_1  // convert two f8 in hi_16 to f32
_v_mac_f32 v[vgprValuC+138], v6, s[sgprBeta]       // finalSum = sum*alpha + C*beta
_v_mac_f32 v[vgprValuC+139], v7, s[sgprBeta]       // finalSum = sum*alpha + C*beta
V_cvt_pk_f32_bf8 v[6:7], v119    // convert two f8 in lo_16 to f32
_v_mac_f32 v[vgprValuC+140], v6, s[sgprBeta]       // finalSum = sum*alpha + C*beta
_v_mac_f32 v[vgprValuC+141], v7, s[sgprBeta]       // finalSum = sum*alpha + C*beta
V_cvt_pk_f32_bf8 v[6:7], v119  src0_sel:WORD_1  // convert two f8 in hi_16 to f32
_v_mac_f32 v[vgprValuC+142], v6, s[sgprBeta]       // finalSum = sum*alpha + C*beta
_v_mac_f32 v[vgprValuC+143], v7, s[sgprBeta]       // finalSum = sum*alpha + C*beta
v_cmp_class_f32 s[54:55], v[vgprValuC+136], v10    // check NaN and +/-INF
v_med3_f32 v6, v[vgprValuC+136], v8, v9            // Clipping f32 value if exceeds the limit
v_cndmask_b32 v6, v6, v[vgprValuC+136], s[54:55]   // 
v_cmp_class_f32 s[54:55], v[vgprValuC+137], v10    // check NaN and +/-INF
v_med3_f32 v7, v[vgprValuC+137], v8, v9            // Clipping f32 value if exceeds the limit
v_cndmask_b32 v7, v7, v[vgprValuC+137], s[54:55]   // 
v_cvt_pk_bf8_f32  v136, v6, v7 op_sel:[0,0,0]      // convert two f32 accumulated values to fp8 and save it to lo_16[0:15]
v_cmp_class_f32 s[54:55], v[vgprValuC+138], v10    // check NaN and +/-INF
v_med3_f32 v6, v[vgprValuC+138], v8, v9            // Clipping f32 value if exceeds the limit
v_cndmask_b32 v6, v6, v[vgprValuC+138], s[54:55]   // 
v_cmp_class_f32 s[54:55], v[vgprValuC+139], v10    // check NaN and +/-INF
v_med3_f32 v7, v[vgprValuC+139], v8, v9            // Clipping f32 value if exceeds the limit
v_cndmask_b32 v7, v7, v[vgprValuC+139], s[54:55]   // 
v_cvt_pk_bf8_f32  v136, v6, v7 op_sel:[0,0,1]      // convert two f32 accumulated values to fp8 and save it to hi_16[16:31]
v_cmp_class_f32 s[54:55], v[vgprValuC+140], v10    // check NaN and +/-INF
v_med3_f32 v6, v[vgprValuC+140], v8, v9            // Clipping f32 value if exceeds the limit
v_cndmask_b32 v6, v6, v[vgprValuC+140], s[54:55]   // 
v_cmp_class_f32 s[54:55], v[vgprValuC+141], v10    // check NaN and +/-INF
v_med3_f32 v7, v[vgprValuC+141], v8, v9            // Clipping f32 value if exceeds the limit
v_cndmask_b32 v7, v7, v[vgprValuC+141], s[54:55]   // 
v_cvt_pk_bf8_f32  v137, v6, v7 op_sel:[0,0,0]      // convert two f32 accumulated values to fp8 and save it to lo_16[0:15]
v_cmp_class_f32 s[54:55], v[vgprValuC+142], v10    // check NaN and +/-INF
v_med3_f32 v6, v[vgprValuC+142], v8, v9            // Clipping f32 value if exceeds the limit
v_cndmask_b32 v6, v6, v[vgprValuC+142], s[54:55]   // 
v_cmp_class_f32 s[54:55], v[vgprValuC+143], v10    // check NaN and +/-INF
v_med3_f32 v7, v[vgprValuC+143], v8, v9            // Clipping f32 value if exceeds the limit
v_cndmask_b32 v7, v7, v[vgprValuC+143], s[54:55]   // 
v_cvt_pk_bf8_f32  v137, v6, v7 op_sel:[0,0,1]      // convert two f32 accumulated values to fp8 and save it to hi_16[16:31]
_buffer_store_b64 v[136:137], v116, s[sgprSrdD:sgprSrdD+3], 0, offen, offset:0,  sc0 sc1 // store D
V_cvt_pk_f32_bf8 v[6:7], v144    // convert two f8 in lo_16 to f32
_v_mac_f32 v[vgprValuC+152], v6, s[sgprBeta]       // finalSum = sum*alpha + C*beta
_v_mac_f32 v[vgprValuC+153], v7, s[sgprBeta]       // finalSum = sum*alpha + C*beta
V_cvt_pk_f32_bf8 v[6:7], v144  src0_sel:WORD_1  // convert two f8 in hi_16 to f32
_v_mac_f32 v[vgprValuC+154], v6, s[sgprBeta]       // finalSum = sum*alpha + C*beta
_v_mac_f32 v[vgprValuC+155], v7, s[sgprBeta]       // finalSum = sum*alpha + C*beta
V_cvt_pk_f32_bf8 v[6:7], v145    // convert two f8 in lo_16 to f32
_v_mac_f32 v[vgprValuC+156], v6, s[sgprBeta]       // finalSum = sum*alpha + C*beta
_v_mac_f32 v[vgprValuC+157], v7, s[sgprBeta]       // finalSum = sum*alpha + C*beta
V_cvt_pk_f32_bf8 v[6:7], v145  src0_sel:WORD_1  // convert two f8 in hi_16 to f32
_v_mac_f32 v[vgprValuC+158], v6, s[sgprBeta]       // finalSum = sum*alpha + C*beta
_v_mac_f32 v[vgprValuC+159], v7, s[sgprBeta]       // finalSum = sum*alpha + C*beta
v_cmp_class_f32 s[54:55], v[vgprValuC+152], v10    // check NaN and +/-INF
v_med3_f32 v6, v[vgprValuC+152], v8, v9            // Clipping f32 value if exceeds the limit
v_cndmask_b32 v6, v6, v[vgprValuC+152], s[54:55]   // 
v_cmp_class_f32 s[54:55], v[vgprValuC+153], v10    // check NaN and +/-INF
v_med3_f32 v7, v[vgprValuC+153], v8, v9            // Clipping f32 value if exceeds the limit
v_cndmask_b32 v7, v7, v[vgprValuC+153], s[54:55]   // 
v_cvt_pk_bf8_f32  v152, v6, v7 op_sel:[0,0,0]      // convert two f32 accumulated values to fp8 and save it to lo_16[0:15]
v_cmp_class_f32 s[54:55], v[vgprValuC+154], v10    // check NaN and +/-INF
v_med3_f32 v6, v[vgprValuC+154], v8, v9            // Clipping f32 value if exceeds the limit
v_cndmask_b32 v6, v6, v[vgprValuC+154], s[54:55]   // 
v_cmp_class_f32 s[54:55], v[vgprValuC+155], v10    // check NaN and +/-INF
v_med3_f32 v7, v[vgprValuC+155], v8, v9            // Clipping f32 value if exceeds the limit
v_cndmask_b32 v7, v7, v[vgprValuC+155], s[54:55]   // 
v_cvt_pk_bf8_f32  v152, v6, v7 op_sel:[0,0,1]      // convert two f32 accumulated values to fp8 and save it to hi_16[16:31]
v_cmp_class_f32 s[54:55], v[vgprValuC+156], v10    // check NaN and +/-INF
v_med3_f32 v6, v[vgprValuC+156], v8, v9            // Clipping f32 value if exceeds the limit
v_cndmask_b32 v6, v6, v[vgprValuC+156], s[54:55]   // 
v_cmp_class_f32 s[54:55], v[vgprValuC+157], v10    // check NaN and +/-INF
v_med3_f32 v7, v[vgprValuC+157], v8, v9            // Clipping f32 value if exceeds the limit
v_cndmask_b32 v7, v7, v[vgprValuC+157], s[54:55]   // 
v_cvt_pk_bf8_f32  v153, v6, v7 op_sel:[0,0,0]      // convert two f32 accumulated values to fp8 and save it to lo_16[0:15]
v_cmp_class_f32 s[54:55], v[vgprValuC+158], v10    // check NaN and +/-INF
v_med3_f32 v6, v[vgprValuC+158], v8, v9            // Clipping f32 value if exceeds the limit
v_cndmask_b32 v6, v6, v[vgprValuC+158], s[54:55]   // 
v_cmp_class_f32 s[54:55], v[vgprValuC+159], v10    // check NaN and +/-INF
v_med3_f32 v7, v[vgprValuC+159], v8, v9            // Clipping f32 value if exceeds the limit
v_cndmask_b32 v7, v7, v[vgprValuC+159], s[54:55]   // 
v_cvt_pk_bf8_f32  v153, v6, v7 op_sel:[0,0,1]      // convert two f32 accumulated values to fp8 and save it to hi_16[16:31]
_buffer_store_b64 v[152:153], v117, s[sgprSrdD:sgprSrdD+3], 0, offen, offset:0,  sc0 sc1 // store D
V_cvt_pk_f32_bf8 v[6:7], v148    // convert two f8 in lo_16 to f32
_v_mac_f32 v[vgprValuC+160], v6, s[sgprBeta]       // finalSum = sum*alpha + C*beta
_v_mac_f32 v[vgprValuC+161], v7, s[sgprBeta]       // finalSum = sum*alpha + C*beta
V_cvt_pk_f32_bf8 v[6:7], v148  src0_sel:WORD_1  // convert two f8 in hi_16 to f32
_v_mac_f32 v[vgprValuC+162], v6, s[sgprBeta]       // finalSum = sum*alpha + C*beta
_v_mac_f32 v[vgprValuC+163], v7, s[sgprBeta]       // finalSum = sum*alpha + C*beta
V_cvt_pk_f32_bf8 v[6:7], v149    // convert two f8 in lo_16 to f32
_v_mac_f32 v[vgprValuC+164], v6, s[sgprBeta]       // finalSum = sum*alpha + C*beta
_v_mac_f32 v[vgprValuC+165], v7, s[sgprBeta]       // finalSum = sum*alpha + C*beta
V_cvt_pk_f32_bf8 v[6:7], v149  src0_sel:WORD_1  // convert two f8 in hi_16 to f32
_v_mac_f32 v[vgprValuC+166], v6, s[sgprBeta]       // finalSum = sum*alpha + C*beta
_v_mac_f32 v[vgprValuC+167], v7, s[sgprBeta]       // finalSum = sum*alpha + C*beta
v_cmp_class_f32 s[54:55], v[vgprValuC+160], v10    // check NaN and +/-INF
v_med3_f32 v6, v[vgprValuC+160], v8, v9            // Clipping f32 value if exceeds the limit
v_cndmask_b32 v6, v6, v[vgprValuC+160], s[54:55]   // 
v_cmp_class_f32 s[54:55], v[vgprValuC+161], v10    // check NaN and +/-INF
v_med3_f32 v7, v[vgprValuC+161], v8, v9            // Clipping f32 value if exceeds the limit
v_cndmask_b32 v7, v7, v[vgprValuC+161], s[54:55]   // 
v_cvt_pk_bf8_f32  v160, v6, v7 op_sel:[0,0,0]      // convert two f32 accumulated values to fp8 and save it to lo_16[0:15]
v_cmp_class_f32 s[54:55], v[vgprValuC+162], v10    // check NaN and +/-INF
v_med3_f32 v6, v[vgprValuC+162], v8, v9            // Clipping f32 value if exceeds the limit
v_cndmask_b32 v6, v6, v[vgprValuC+162], s[54:55]   // 
v_cmp_class_f32 s[54:55], v[vgprValuC+163], v10    // check NaN and +/-INF
v_med3_f32 v7, v[vgprValuC+163], v8, v9            // Clipping f32 value if exceeds the limit
v_cndmask_b32 v7, v7, v[vgprValuC+163], s[54:55]   // 
v_cvt_pk_bf8_f32  v160, v6, v7 op_sel:[0,0,1]      // convert two f32 accumulated values to fp8 and save it to hi_16[16:31]
v_cmp_class_f32 s[54:55], v[vgprValuC+164], v10    // check NaN and +/-INF
v_med3_f32 v6, v[vgprValuC+164], v8, v9            // Clipping f32 value if exceeds the limit
v_cndmask_b32 v6, v6, v[vgprValuC+164], s[54:55]   // 
v_cmp_class_f32 s[54:55], v[vgprValuC+165], v10    // check NaN and +/-INF
v_med3_f32 v7, v[vgprValuC+165], v8, v9            // Clipping f32 value if exceeds the limit
v_cndmask_b32 v7, v7, v[vgprValuC+165], s[54:55]   // 
v_cvt_pk_bf8_f32  v161, v6, v7 op_sel:[0,0,0]      // convert two f32 accumulated values to fp8 and save it to lo_16[0:15]
v_cmp_class_f32 s[54:55], v[vgprValuC+166], v10    // check NaN and +/-INF
v_med3_f32 v6, v[vgprValuC+166], v8, v9            // Clipping f32 value if exceeds the limit
v_cndmask_b32 v6, v6, v[vgprValuC+166], s[54:55]   // 
v_cmp_class_f32 s[54:55], v[vgprValuC+167], v10    // check NaN and +/-INF
v_med3_f32 v7, v[vgprValuC+167], v8, v9            // Clipping f32 value if exceeds the limit
v_cndmask_b32 v7, v7, v[vgprValuC+167], s[54:55]   // 
v_cvt_pk_bf8_f32  v161, v6, v7 op_sel:[0,0,1]      // convert two f32 accumulated values to fp8 and save it to hi_16[16:31]
_buffer_store_b64 v[160:161], v146, s[sgprSrdD:sgprSrdD+3], 0, offen, offset:0,  sc0 sc1 // store D
V_cvt_pk_f32_bf8 v[6:7], v150    // convert two f8 in lo_16 to f32
_v_mac_f32 v[vgprValuC+168], v6, s[sgprBeta]       // finalSum = sum*alpha + C*beta
_v_mac_f32 v[vgprValuC+169], v7, s[sgprBeta]       // finalSum = sum*alpha + C*beta
V_cvt_pk_f32_bf8 v[6:7], v150  src0_sel:WORD_1  // convert two f8 in hi_16 to f32
_v_mac_f32 v[vgprValuC+170], v6, s[sgprBeta]       // finalSum = sum*alpha + C*beta
_v_mac_f32 v[vgprValuC+171], v7, s[sgprBeta]       // finalSum = sum*alpha + C*beta
V_cvt_pk_f32_bf8 v[6:7], v151    // convert two f8 in lo_16 to f32
_v_mac_f32 v[vgprValuC+172], v6, s[sgprBeta]       // finalSum = sum*alpha + C*beta
_v_mac_f32 v[vgprValuC+173], v7, s[sgprBeta]       // finalSum = sum*alpha + C*beta
V_cvt_pk_f32_bf8 v[6:7], v151  src0_sel:WORD_1  // convert two f8 in hi_16 to f32
_v_mac_f32 v[vgprValuC+174], v6, s[sgprBeta]       // finalSum = sum*alpha + C*beta
_v_mac_f32 v[vgprValuC+175], v7, s[sgprBeta]       // finalSum = sum*alpha + C*beta
v_cmp_class_f32 s[54:55], v[vgprValuC+168], v10    // check NaN and +/-INF
v_med3_f32 v6, v[vgprValuC+168], v8, v9            // Clipping f32 value if exceeds the limit
v_cndmask_b32 v6, v6, v[vgprValuC+168], s[54:55]   // 
v_cmp_class_f32 s[54:55], v[vgprValuC+169], v10    // check NaN and +/-INF
v_med3_f32 v7, v[vgprValuC+169], v8, v9            // Clipping f32 value if exceeds the limit
v_cndmask_b32 v7, v7, v[vgprValuC+169], s[54:55]   // 
v_cvt_pk_bf8_f32  v168, v6, v7 op_sel:[0,0,0]      // convert two f32 accumulated values to fp8 and save it to lo_16[0:15]
v_cmp_class_f32 s[54:55], v[vgprValuC+170], v10    // check NaN and +/-INF
v_med3_f32 v6, v[vgprValuC+170], v8, v9            // Clipping f32 value if exceeds the limit
v_cndmask_b32 v6, v6, v[vgprValuC+170], s[54:55]   // 
v_cmp_class_f32 s[54:55], v[vgprValuC+171], v10    // check NaN and +/-INF
v_med3_f32 v7, v[vgprValuC+171], v8, v9            // Clipping f32 value if exceeds the limit
v_cndmask_b32 v7, v7, v[vgprValuC+171], s[54:55]   // 
v_cvt_pk_bf8_f32  v168, v6, v7 op_sel:[0,0,1]      // convert two f32 accumulated values to fp8 and save it to hi_16[16:31]
v_cmp_class_f32 s[54:55], v[vgprValuC+172], v10    // check NaN and +/-INF
v_med3_f32 v6, v[vgprValuC+172], v8, v9            // Clipping f32 value if exceeds the limit
v_cndmask_b32 v6, v6, v[vgprValuC+172], s[54:55]   // 
v_cmp_class_f32 s[54:55], v[vgprValuC+173], v10    // check NaN and +/-INF
v_med3_f32 v7, v[vgprValuC+173], v8, v9            // Clipping f32 value if exceeds the limit
v_cndmask_b32 v7, v7, v[vgprValuC+173], s[54:55]   // 
v_cvt_pk_bf8_f32  v169, v6, v7 op_sel:[0,0,0]      // convert two f32 accumulated values to fp8 and save it to lo_16[0:15]
v_cmp_class_f32 s[54:55], v[vgprValuC+174], v10    // check NaN and +/-INF
v_med3_f32 v6, v[vgprValuC+174], v8, v9            // Clipping f32 value if exceeds the limit
v_cndmask_b32 v6, v6, v[vgprValuC+174], s[54:55]   // 
v_cmp_class_f32 s[54:55], v[vgprValuC+175], v10    // check NaN and +/-INF
v_med3_f32 v7, v[vgprValuC+175], v8, v9            // Clipping f32 value if exceeds the limit
v_cndmask_b32 v7, v7, v[vgprValuC+175], s[54:55]   // 
v_cvt_pk_bf8_f32  v169, v6, v7 op_sel:[0,0,1]      // convert two f32 accumulated values to fp8 and save it to hi_16[16:31]
_buffer_store_b64 v[168:169], v147, s[sgprSrdD:sgprSrdD+3], 0, offen, offset:0,  sc0 sc1 // store D
V_cvt_pk_f32_bf8 v[6:7], v178    // convert two f8 in lo_16 to f32
_v_mac_f32 v[vgprValuC+184], v6, s[sgprBeta]       // finalSum = sum*alpha + C*beta
_v_mac_f32 v[vgprValuC+185], v7, s[sgprBeta]       // finalSum = sum*alpha + C*beta
V_cvt_pk_f32_bf8 v[6:7], v178  src0_sel:WORD_1  // convert two f8 in hi_16 to f32
_v_mac_f32 v[vgprValuC+186], v6, s[sgprBeta]       // finalSum = sum*alpha + C*beta
_v_mac_f32 v[vgprValuC+187], v7, s[sgprBeta]       // finalSum = sum*alpha + C*beta
V_cvt_pk_f32_bf8 v[6:7], v179    // convert two f8 in lo_16 to f32
_v_mac_f32 v[vgprValuC+188], v6, s[sgprBeta]       // finalSum = sum*alpha + C*beta
_v_mac_f32 v[vgprValuC+189], v7, s[sgprBeta]       // finalSum = sum*alpha + C*beta
V_cvt_pk_f32_bf8 v[6:7], v179  src0_sel:WORD_1  // convert two f8 in hi_16 to f32
_v_mac_f32 v[vgprValuC+190], v6, s[sgprBeta]       // finalSum = sum*alpha + C*beta
_v_mac_f32 v[vgprValuC+191], v7, s[sgprBeta]       // finalSum = sum*alpha + C*beta
v_cmp_class_f32 s[54:55], v[vgprValuC+184], v10    // check NaN and +/-INF
v_med3_f32 v6, v[vgprValuC+184], v8, v9            // Clipping f32 value if exceeds the limit
v_cndmask_b32 v6, v6, v[vgprValuC+184], s[54:55]   // 
v_cmp_class_f32 s[54:55], v[vgprValuC+185], v10    // check NaN and +/-INF
v_med3_f32 v7, v[vgprValuC+185], v8, v9            // Clipping f32 value if exceeds the limit
v_cndmask_b32 v7, v7, v[vgprValuC+185], s[54:55]   // 
v_cvt_pk_bf8_f32  v184, v6, v7 op_sel:[0,0,0]      // convert two f32 accumulated values to fp8 and save it to lo_16[0:15]
v_cmp_class_f32 s[54:55], v[vgprValuC+186], v10    // check NaN and +/-INF
v_med3_f32 v6, v[vgprValuC+186], v8, v9            // Clipping f32 value if exceeds the limit
v_cndmask_b32 v6, v6, v[vgprValuC+186], s[54:55]   // 
v_cmp_class_f32 s[54:55], v[vgprValuC+187], v10    // check NaN and +/-INF
v_med3_f32 v7, v[vgprValuC+187], v8, v9            // Clipping f32 value if exceeds the limit
v_cndmask_b32 v7, v7, v[vgprValuC+187], s[54:55]   // 
v_cvt_pk_bf8_f32  v184, v6, v7 op_sel:[0,0,1]      // convert two f32 accumulated values to fp8 and save it to hi_16[16:31]
v_cmp_class_f32 s[54:55], v[vgprValuC+188], v10    // check NaN and +/-INF
v_med3_f32 v6, v[vgprValuC+188], v8, v9            // Clipping f32 value if exceeds the limit
v_cndmask_b32 v6, v6, v[vgprValuC+188], s[54:55]   // 
v_cmp_class_f32 s[54:55], v[vgprValuC+189], v10    // check NaN and +/-INF
v_med3_f32 v7, v[vgprValuC+189], v8, v9            // Clipping f32 value if exceeds the limit
v_cndmask_b32 v7, v7, v[vgprValuC+189], s[54:55]   // 
v_cvt_pk_bf8_f32  v185, v6, v7 op_sel:[0,0,0]      // convert two f32 accumulated values to fp8 and save it to lo_16[0:15]
v_cmp_class_f32 s[54:55], v[vgprValuC+190], v10    // check NaN and +/-INF
v_med3_f32 v6, v[vgprValuC+190], v8, v9            // Clipping f32 value if exceeds the limit
v_cndmask_b32 v6, v6, v[vgprValuC+190], s[54:55]   // 
v_cmp_class_f32 s[54:55], v[vgprValuC+191], v10    // check NaN and +/-INF
v_med3_f32 v7, v[vgprValuC+191], v8, v9            // Clipping f32 value if exceeds the limit
v_cndmask_b32 v7, v7, v[vgprValuC+191], s[54:55]   // 
v_cvt_pk_bf8_f32  v185, v6, v7 op_sel:[0,0,1]      // convert two f32 accumulated values to fp8 and save it to hi_16[16:31]
_buffer_store_b64 v[184:185], v176, s[sgprSrdD:sgprSrdD+3], 0, offen, offset:0,  sc0 sc1 // store D
V_cvt_pk_f32_bf8 v[6:7], v180    // convert two f8 in lo_16 to f32
_v_mac_f32 v[vgprValuC+192], v6, s[sgprBeta]       // finalSum = sum*alpha + C*beta
_v_mac_f32 v[vgprValuC+193], v7, s[sgprBeta]       // finalSum = sum*alpha + C*beta
V_cvt_pk_f32_bf8 v[6:7], v180  src0_sel:WORD_1  // convert two f8 in hi_16 to f32
_v_mac_f32 v[vgprValuC+194], v6, s[sgprBeta]       // finalSum = sum*alpha + C*beta
_v_mac_f32 v[vgprValuC+195], v7, s[sgprBeta]       // finalSum = sum*alpha + C*beta
V_cvt_pk_f32_bf8 v[6:7], v181    // convert two f8 in lo_16 to f32
_v_mac_f32 v[vgprValuC+196], v6, s[sgprBeta]       // finalSum = sum*alpha + C*beta
_v_mac_f32 v[vgprValuC+197], v7, s[sgprBeta]       // finalSum = sum*alpha + C*beta
V_cvt_pk_f32_bf8 v[6:7], v181  src0_sel:WORD_1  // convert two f8 in hi_16 to f32
_v_mac_f32 v[vgprValuC+198], v6, s[sgprBeta]       // finalSum = sum*alpha + C*beta
_v_mac_f32 v[vgprValuC+199], v7, s[sgprBeta]       // finalSum = sum*alpha + C*beta
v_cmp_class_f32 s[54:55], v[vgprValuC+192], v10    // check NaN and +/-INF
v_med3_f32 v6, v[vgprValuC+192], v8, v9            // Clipping f32 value if exceeds the limit
v_cndmask_b32 v6, v6, v[vgprValuC+192], s[54:55]   // 
v_cmp_class_f32 s[54:55], v[vgprValuC+193], v10    // check NaN and +/-INF
v_med3_f32 v7, v[vgprValuC+193], v8, v9            // Clipping f32 value if exceeds the limit
v_cndmask_b32 v7, v7, v[vgprValuC+193], s[54:55]   // 
v_cvt_pk_bf8_f32  v192, v6, v7 op_sel:[0,0,0]      // convert two f32 accumulated values to fp8 and save it to lo_16[0:15]
v_cmp_class_f32 s[54:55], v[vgprValuC+194], v10    // check NaN and +/-INF
v_med3_f32 v6, v[vgprValuC+194], v8, v9            // Clipping f32 value if exceeds the limit
v_cndmask_b32 v6, v6, v[vgprValuC+194], s[54:55]   // 
v_cmp_class_f32 s[54:55], v[vgprValuC+195], v10    // check NaN and +/-INF
v_med3_f32 v7, v[vgprValuC+195], v8, v9            // Clipping f32 value if exceeds the limit
v_cndmask_b32 v7, v7, v[vgprValuC+195], s[54:55]   // 
v_cvt_pk_bf8_f32  v192, v6, v7 op_sel:[0,0,1]      // convert two f32 accumulated values to fp8 and save it to hi_16[16:31]
v_cmp_class_f32 s[54:55], v[vgprValuC+196], v10    // check NaN and +/-INF
v_med3_f32 v6, v[vgprValuC+196], v8, v9            // Clipping f32 value if exceeds the limit
v_cndmask_b32 v6, v6, v[vgprValuC+196], s[54:55]   // 
v_cmp_class_f32 s[54:55], v[vgprValuC+197], v10    // check NaN and +/-INF
v_med3_f32 v7, v[vgprValuC+197], v8, v9            // Clipping f32 value if exceeds the limit
v_cndmask_b32 v7, v7, v[vgprValuC+197], s[54:55]   // 
v_cvt_pk_bf8_f32  v193, v6, v7 op_sel:[0,0,0]      // convert two f32 accumulated values to fp8 and save it to lo_16[0:15]
v_cmp_class_f32 s[54:55], v[vgprValuC+198], v10    // check NaN and +/-INF
v_med3_f32 v6, v[vgprValuC+198], v8, v9            // Clipping f32 value if exceeds the limit
v_cndmask_b32 v6, v6, v[vgprValuC+198], s[54:55]   // 
v_cmp_class_f32 s[54:55], v[vgprValuC+199], v10    // check NaN and +/-INF
v_med3_f32 v7, v[vgprValuC+199], v8, v9            // Clipping f32 value if exceeds the limit
v_cndmask_b32 v7, v7, v[vgprValuC+199], s[54:55]   // 
v_cvt_pk_bf8_f32  v193, v6, v7 op_sel:[0,0,1]      // convert two f32 accumulated values to fp8 and save it to hi_16[16:31]
_buffer_store_b64 v[192:193], v177, s[sgprSrdD:sgprSrdD+3], 0, offen, offset:0,  sc0 sc1 // store D
V_cvt_pk_f32_bf8 v[6:7], v200    // convert two f8 in lo_16 to f32
_v_mac_f32 v[vgprValuC+208], v6, s[sgprBeta]       // finalSum = sum*alpha + C*beta
_v_mac_f32 v[vgprValuC+209], v7, s[sgprBeta]       // finalSum = sum*alpha + C*beta
V_cvt_pk_f32_bf8 v[6:7], v200  src0_sel:WORD_1  // convert two f8 in hi_16 to f32
_v_mac_f32 v[vgprValuC+210], v6, s[sgprBeta]       // finalSum = sum*alpha + C*beta
_v_mac_f32 v[vgprValuC+211], v7, s[sgprBeta]       // finalSum = sum*alpha + C*beta
V_cvt_pk_f32_bf8 v[6:7], v201    // convert two f8 in lo_16 to f32
_v_mac_f32 v[vgprValuC+212], v6, s[sgprBeta]       // finalSum = sum*alpha + C*beta
_v_mac_f32 v[vgprValuC+213], v7, s[sgprBeta]       // finalSum = sum*alpha + C*beta
V_cvt_pk_f32_bf8 v[6:7], v201  src0_sel:WORD_1  // convert two f8 in hi_16 to f32
_v_mac_f32 v[vgprValuC+214], v6, s[sgprBeta]       // finalSum = sum*alpha + C*beta
_v_mac_f32 v[vgprValuC+215], v7, s[sgprBeta]       // finalSum = sum*alpha + C*beta
v_cmp_class_f32 s[54:55], v[vgprValuC+208], v10    // check NaN and +/-INF
v_med3_f32 v6, v[vgprValuC+208], v8, v9            // Clipping f32 value if exceeds the limit
v_cndmask_b32 v6, v6, v[vgprValuC+208], s[54:55]   // 
v_cmp_class_f32 s[54:55], v[vgprValuC+209], v10    // check NaN and +/-INF
v_med3_f32 v7, v[vgprValuC+209], v8, v9            // Clipping f32 value if exceeds the limit
v_cndmask_b32 v7, v7, v[vgprValuC+209], s[54:55]   // 
v_cvt_pk_bf8_f32  v208, v6, v7 op_sel:[0,0,0]      // convert two f32 accumulated values to fp8 and save it to lo_16[0:15]
v_cmp_class_f32 s[54:55], v[vgprValuC+210], v10    // check NaN and +/-INF
v_med3_f32 v6, v[vgprValuC+210], v8, v9            // Clipping f32 value if exceeds the limit
v_cndmask_b32 v6, v6, v[vgprValuC+210], s[54:55]   // 
v_cmp_class_f32 s[54:55], v[vgprValuC+211], v10    // check NaN and +/-INF
v_med3_f32 v7, v[vgprValuC+211], v8, v9            // Clipping f32 value if exceeds the limit
v_cndmask_b32 v7, v7, v[vgprValuC+211], s[54:55]   // 
v_cvt_pk_bf8_f32  v208, v6, v7 op_sel:[0,0,1]      // convert two f32 accumulated values to fp8 and save it to hi_16[16:31]
v_cmp_class_f32 s[54:55], v[vgprValuC+212], v10    // check NaN and +/-INF
v_med3_f32 v6, v[vgprValuC+212], v8, v9            // Clipping f32 value if exceeds the limit
v_cndmask_b32 v6, v6, v[vgprValuC+212], s[54:55]   // 
v_cmp_class_f32 s[54:55], v[vgprValuC+213], v10    // check NaN and +/-INF
v_med3_f32 v7, v[vgprValuC+213], v8, v9            // Clipping f32 value if exceeds the limit
v_cndmask_b32 v7, v7, v[vgprValuC+213], s[54:55]   // 
v_cvt_pk_bf8_f32  v209, v6, v7 op_sel:[0,0,0]      // convert two f32 accumulated values to fp8 and save it to lo_16[0:15]
v_cmp_class_f32 s[54:55], v[vgprValuC+214], v10    // check NaN and +/-INF
v_med3_f32 v6, v[vgprValuC+214], v8, v9            // Clipping f32 value if exceeds the limit
v_cndmask_b32 v6, v6, v[vgprValuC+214], s[54:55]   // 
v_cmp_class_f32 s[54:55], v[vgprValuC+215], v10    // check NaN and +/-INF
v_med3_f32 v7, v[vgprValuC+215], v8, v9            // Clipping f32 value if exceeds the limit
v_cndmask_b32 v7, v7, v[vgprValuC+215], s[54:55]   // 
v_cvt_pk_bf8_f32  v209, v6, v7 op_sel:[0,0,1]      // convert two f32 accumulated values to fp8 and save it to hi_16[16:31]
_buffer_store_b64 v[208:209], v182, s[sgprSrdD:sgprSrdD+3], 0, offen, offset:0,  sc0 sc1 // store D
V_cvt_pk_f32_bf8 v[6:7], v202    // convert two f8 in lo_16 to f32
_v_mac_f32 v[vgprValuC+216], v6, s[sgprBeta]       // finalSum = sum*alpha + C*beta
_v_mac_f32 v[vgprValuC+217], v7, s[sgprBeta]       // finalSum = sum*alpha + C*beta
V_cvt_pk_f32_bf8 v[6:7], v202  src0_sel:WORD_1  // convert two f8 in hi_16 to f32
_v_mac_f32 v[vgprValuC+218], v6, s[sgprBeta]       // finalSum = sum*alpha + C*beta
_v_mac_f32 v[vgprValuC+219], v7, s[sgprBeta]       // finalSum = sum*alpha + C*beta
V_cvt_pk_f32_bf8 v[6:7], v203    // convert two f8 in lo_16 to f32
_v_mac_f32 v[vgprValuC+220], v6, s[sgprBeta]       // finalSum = sum*alpha + C*beta
_v_mac_f32 v[vgprValuC+221], v7, s[sgprBeta]       // finalSum = sum*alpha + C*beta
V_cvt_pk_f32_bf8 v[6:7], v203  src0_sel:WORD_1  // convert two f8 in hi_16 to f32
_v_mac_f32 v[vgprValuC+222], v6, s[sgprBeta]       // finalSum = sum*alpha + C*beta
_v_mac_f32 v[vgprValuC+223], v7, s[sgprBeta]       // finalSum = sum*alpha + C*beta
v_cmp_class_f32 s[54:55], v[vgprValuC+216], v10    // check NaN and +/-INF
v_med3_f32 v6, v[vgprValuC+216], v8, v9            // Clipping f32 value if exceeds the limit
v_cndmask_b32 v6, v6, v[vgprValuC+216], s[54:55]   // 
v_cmp_class_f32 s[54:55], v[vgprValuC+217], v10    // check NaN and +/-INF
v_med3_f32 v7, v[vgprValuC+217], v8, v9            // Clipping f32 value if exceeds the limit
v_cndmask_b32 v7, v7, v[vgprValuC+217], s[54:55]   // 
v_cvt_pk_bf8_f32  v216, v6, v7 op_sel:[0,0,0]      // convert two f32 accumulated values to fp8 and save it to lo_16[0:15]
v_cmp_class_f32 s[54:55], v[vgprValuC+218], v10    // check NaN and +/-INF
v_med3_f32 v6, v[vgprValuC+218], v8, v9            // Clipping f32 value if exceeds the limit
v_cndmask_b32 v6, v6, v[vgprValuC+218], s[54:55]   // 
v_cmp_class_f32 s[54:55], v[vgprValuC+219], v10    // check NaN and +/-INF
v_med3_f32 v7, v[vgprValuC+219], v8, v9            // Clipping f32 value if exceeds the limit
v_cndmask_b32 v7, v7, v[vgprValuC+219], s[54:55]   // 
v_cvt_pk_bf8_f32  v216, v6, v7 op_sel:[0,0,1]      // convert two f32 accumulated values to fp8 and save it to hi_16[16:31]
v_cmp_class_f32 s[54:55], v[vgprValuC+220], v10    // check NaN and +/-INF
v_med3_f32 v6, v[vgprValuC+220], v8, v9            // Clipping f32 value if exceeds the limit
v_cndmask_b32 v6, v6, v[vgprValuC+220], s[54:55]   // 
v_cmp_class_f32 s[54:55], v[vgprValuC+221], v10    // check NaN and +/-INF
v_med3_f32 v7, v[vgprValuC+221], v8, v9            // Clipping f32 value if exceeds the limit
v_cndmask_b32 v7, v7, v[vgprValuC+221], s[54:55]   // 
v_cvt_pk_bf8_f32  v217, v6, v7 op_sel:[0,0,0]      // convert two f32 accumulated values to fp8 and save it to lo_16[0:15]
v_cmp_class_f32 s[54:55], v[vgprValuC+222], v10    // check NaN and +/-INF
v_med3_f32 v6, v[vgprValuC+222], v8, v9            // Clipping f32 value if exceeds the limit
v_cndmask_b32 v6, v6, v[vgprValuC+222], s[54:55]   // 
v_cmp_class_f32 s[54:55], v[vgprValuC+223], v10    // check NaN and +/-INF
v_med3_f32 v7, v[vgprValuC+223], v8, v9            // Clipping f32 value if exceeds the limit
v_cndmask_b32 v7, v7, v[vgprValuC+223], s[54:55]   // 
v_cvt_pk_bf8_f32  v217, v6, v7 op_sel:[0,0,1]      // convert two f32 accumulated values to fp8 and save it to hi_16[16:31]
_buffer_store_b64 v[216:217], v183, s[sgprSrdD:sgprSrdD+3], 0, offen, offset:0,  sc0 sc1 // store D
V_cvt_pk_f32_bf8 v[6:7], v206    // convert two f8 in lo_16 to f32
_v_mac_f32 v[vgprValuC+224], v6, s[sgprBeta]       // finalSum = sum*alpha + C*beta
_v_mac_f32 v[vgprValuC+225], v7, s[sgprBeta]       // finalSum = sum*alpha + C*beta
V_cvt_pk_f32_bf8 v[6:7], v206  src0_sel:WORD_1  // convert two f8 in hi_16 to f32
_v_mac_f32 v[vgprValuC+226], v6, s[sgprBeta]       // finalSum = sum*alpha + C*beta
_v_mac_f32 v[vgprValuC+227], v7, s[sgprBeta]       // finalSum = sum*alpha + C*beta
V_cvt_pk_f32_bf8 v[6:7], v207    // convert two f8 in lo_16 to f32
_v_mac_f32 v[vgprValuC+228], v6, s[sgprBeta]       // finalSum = sum*alpha + C*beta
_v_mac_f32 v[vgprValuC+229], v7, s[sgprBeta]       // finalSum = sum*alpha + C*beta
V_cvt_pk_f32_bf8 v[6:7], v207  src0_sel:WORD_1  // convert two f8 in hi_16 to f32
_v_mac_f32 v[vgprValuC+230], v6, s[sgprBeta]       // finalSum = sum*alpha + C*beta
_v_mac_f32 v[vgprValuC+231], v7, s[sgprBeta]       // finalSum = sum*alpha + C*beta
v_cmp_class_f32 s[54:55], v[vgprValuC+224], v10    // check NaN and +/-INF
v_med3_f32 v6, v[vgprValuC+224], v8, v9            // Clipping f32 value if exceeds the limit
v_cndmask_b32 v6, v6, v[vgprValuC+224], s[54:55]   // 
v_cmp_class_f32 s[54:55], v[vgprValuC+225], v10    // check NaN and +/-INF
v_med3_f32 v7, v[vgprValuC+225], v8, v9            // Clipping f32 value if exceeds the limit
v_cndmask_b32 v7, v7, v[vgprValuC+225], s[54:55]   // 
v_cvt_pk_bf8_f32  v224, v6, v7 op_sel:[0,0,0]      // convert two f32 accumulated values to fp8 and save it to lo_16[0:15]
v_cmp_class_f32 s[54:55], v[vgprValuC+226], v10    // check NaN and +/-INF
v_med3_f32 v6, v[vgprValuC+226], v8, v9            // Clipping f32 value if exceeds the limit
v_cndmask_b32 v6, v6, v[vgprValuC+226], s[54:55]   // 
v_cmp_class_f32 s[54:55], v[vgprValuC+227], v10    // check NaN and +/-INF
v_med3_f32 v7, v[vgprValuC+227], v8, v9            // Clipping f32 value if exceeds the limit
v_cndmask_b32 v7, v7, v[vgprValuC+227], s[54:55]   // 
v_cvt_pk_bf8_f32  v224, v6, v7 op_sel:[0,0,1]      // convert two f32 accumulated values to fp8 and save it to hi_16[16:31]
v_cmp_class_f32 s[54:55], v[vgprValuC+228], v10    // check NaN and +/-INF
v_med3_f32 v6, v[vgprValuC+228], v8, v9            // Clipping f32 value if exceeds the limit
v_cndmask_b32 v6, v6, v[vgprValuC+228], s[54:55]   // 
v_cmp_class_f32 s[54:55], v[vgprValuC+229], v10    // check NaN and +/-INF
v_med3_f32 v7, v[vgprValuC+229], v8, v9            // Clipping f32 value if exceeds the limit
v_cndmask_b32 v7, v7, v[vgprValuC+229], s[54:55]   // 
v_cvt_pk_bf8_f32  v225, v6, v7 op_sel:[0,0,0]      // convert two f32 accumulated values to fp8 and save it to lo_16[0:15]
v_cmp_class_f32 s[54:55], v[vgprValuC+230], v10    // check NaN and +/-INF
v_med3_f32 v6, v[vgprValuC+230], v8, v9            // Clipping f32 value if exceeds the limit
v_cndmask_b32 v6, v6, v[vgprValuC+230], s[54:55]   // 
v_cmp_class_f32 s[54:55], v[vgprValuC+231], v10    // check NaN and +/-INF
v_med3_f32 v7, v[vgprValuC+231], v8, v9            // Clipping f32 value if exceeds the limit
v_cndmask_b32 v7, v7, v[vgprValuC+231], s[54:55]   // 
v_cvt_pk_bf8_f32  v225, v6, v7 op_sel:[0,0,1]      // convert two f32 accumulated values to fp8 and save it to hi_16[16:31]
_buffer_store_b64 v[224:225], v204, s[sgprSrdD:sgprSrdD+3], 0, offen, offset:0,  sc0 sc1 // store D
s_nop 0                                            // 1 wait state required when next inst writes vgprs held by previous dwordx4 store inst
/* optSingleColVgpr=0 optSharedColVgpr=0 optSGPRUsage=BufferLoad_Edge_Mask optSrdIncForRow=0 */

/******************************************/
/* Global Write Alpha Beta Edge Batch #1 (d1,d0,vc1,vc0) = */
/*    (5,0,0,0:vw8); (5,0,1,0:vw8); (5,0,2,0:vw8); (5,0,3,0:vw8); (6,0,0,0:vw8); (6,0,1,0:vw8); (6,0,2,0:vw8); (6,0,3,0:vw8) */
/******************************************/

/* calc coords, apply mask, and issue loads (if necessary) */
/* (d1,vc1,d0,vc0)=(5,0,0,0) */
_v_add_co_u32 v1, vcc, v1, 29                      // coord1.1: coord1Vgpr += d1*sg1*VW + vc1

/* Fix for UseInitialStridesCD, emitAddressSetupCode */
s_mul_i32 s54, s[sgprStrideC1J], 29                // scale stride
_v_add_u32 v2, v2, s54                             // ROWINC- Move cinRowPtr to next row
s_mul_i32 s54, s[sgprStrideD1J], 29                // scale stride
_v_add_u32 v3, v3, s54                             // Move coutRowPtr to next row
v_cmp_lt_u32 s[54:55], v0, s[sgprSizeI]            // coord0 < size0
v_cmp_lt_u32 s[58:59], v1, s[sgprSizeJ]            // coord1 < size1
s_and_b64 s[58:59], s[54:55], s[58:59]             // in0 && in1
_v_add_lshl_u32 v11, v2, v0, 0x0                   // scaleToBpe: accumulate d0 lower and *= bpe into Cin addr
v_cndmask_b32 v11, -1, v11, s[58:59]               // LDC clip if OOB. offset
_buffer_load_b64 v[12:13], v11, s[sgprSrdC:sgprSrdC+3], 0, offen offset:0,  sc0 sc1 // load C for beta calc
_v_add_lshl_u32 v11, v3, v0, 0x0                   // scaleToBpe: accumulate d0 lower and *= bpe into Cin addr
v_cndmask_b32 v11, -1, v11, s[58:59]               // LDD clip if OOB. offset
/* (d1,vc1,d0,vc0)=(5,1,0,0) */
_v_add_co_u32 v1, vcc, v1, 1                       // coord1.1: coord1Vgpr += d1*sg1*VW + vc1

/* Fix for UseInitialStridesCD, emitAddressSetupCode */
_v_add_u32 v2, v2, s[sgprStrideC1J]                // ROWINC- Move cinRowPtr to next row
_v_add_u32 v3, v3, s[sgprStrideD1J]                // Move coutRowPtr to next row
v_cmp_lt_u32 s[54:55], v0, s[sgprSizeI]            // coord0 < size0
v_cmp_lt_u32 s[58:59], v1, s[sgprSizeJ]            // coord1 < size1
s_and_b64 s[58:59], s[54:55], s[58:59]             // in0 && in1
_v_add_lshl_u32 v14, v2, v0, 0x0                   // scaleToBpe: accumulate d0 lower and *= bpe into Cin addr
v_cndmask_b32 v14, -1, v14, s[58:59]               // LDC clip if OOB. offset
_buffer_load_b64 v[24:25], v14, s[sgprSrdC:sgprSrdC+3], 0, offen offset:0,  sc0 sc1 // load C for beta calc
_v_add_lshl_u32 v14, v3, v0, 0x0                   // scaleToBpe: accumulate d0 lower and *= bpe into Cin addr
v_cndmask_b32 v14, -1, v14, s[58:59]               // LDD clip if OOB. offset
/* (d1,vc1,d0,vc0)=(5,2,0,0) */
_v_add_co_u32 v1, vcc, v1, 1                       // coord1.1: coord1Vgpr += d1*sg1*VW + vc1

/* Fix for UseInitialStridesCD, emitAddressSetupCode */
_v_add_u32 v2, v2, s[sgprStrideC1J]                // ROWINC- Move cinRowPtr to next row
_v_add_u32 v3, v3, s[sgprStrideD1J]                // Move coutRowPtr to next row
	;; [unrolled: 14-line block ×3, first 2 shown]
v_cmp_lt_u32 s[54:55], v0, s[sgprSizeI]            // coord0 < size0
v_cmp_lt_u32 s[58:59], v1, s[sgprSizeJ]            // coord1 < size1
s_and_b64 s[58:59], s[54:55], s[58:59]             // in0 && in1
_v_add_lshl_u32 v28, v2, v0, 0x0                   // scaleToBpe: accumulate d0 lower and *= bpe into Cin addr
v_cndmask_b32 v28, -1, v28, s[58:59]               // LDC clip if OOB. offset
_buffer_load_b64 v[30:31], v28, s[sgprSrdC:sgprSrdC+3], 0, offen offset:0,  sc0 sc1 // load C for beta calc
_v_add_lshl_u32 v28, v3, v0, 0x0                   // scaleToBpe: accumulate d0 lower and *= bpe into Cin addr
v_cndmask_b32 v28, -1, v28, s[58:59]               // LDD clip if OOB. offset
/* (d1,vc1,d0,vc0)=(6,0,0,0) */
_v_add_co_u32 v1, vcc, v1, 29                      // coord1.1: coord1Vgpr += d1*sg1*VW + vc1

/* Fix for UseInitialStridesCD, emitAddressSetupCode */
s_mul_i32 s54, s[sgprStrideC1J], 29                // scale stride
_v_add_u32 v2, v2, s54                             // ROWINC- Move cinRowPtr to next row
s_mul_i32 s54, s[sgprStrideD1J], 29                // scale stride
_v_add_u32 v3, v3, s54                             // Move coutRowPtr to next row
v_cmp_lt_u32 s[54:55], v0, s[sgprSizeI]            // coord0 < size0
v_cmp_lt_u32 s[58:59], v1, s[sgprSizeJ]            // coord1 < size1
s_and_b64 s[58:59], s[54:55], s[58:59]             // in0 && in1
_v_add_lshl_u32 v29, v2, v0, 0x0                   // scaleToBpe: accumulate d0 lower and *= bpe into Cin addr
v_cndmask_b32 v29, -1, v29, s[58:59]               // LDC clip if OOB. offset
_buffer_load_b64 v[56:57], v29, s[sgprSrdC:sgprSrdC+3], 0, offen offset:0,  sc0 sc1 // load C for beta calc
_v_add_lshl_u32 v29, v3, v0, 0x0                   // scaleToBpe: accumulate d0 lower and *= bpe into Cin addr
v_cndmask_b32 v29, -1, v29, s[58:59]               // LDD clip if OOB. offset
/* (d1,vc1,d0,vc0)=(6,1,0,0) */
_v_add_co_u32 v1, vcc, v1, 1                       // coord1.1: coord1Vgpr += d1*sg1*VW + vc1

/* Fix for UseInitialStridesCD, emitAddressSetupCode */
_v_add_u32 v2, v2, s[sgprStrideC1J]                // ROWINC- Move cinRowPtr to next row
_v_add_u32 v3, v3, s[sgprStrideD1J]                // Move coutRowPtr to next row
v_cmp_lt_u32 s[54:55], v0, s[sgprSizeI]            // coord0 < size0
v_cmp_lt_u32 s[58:59], v1, s[sgprSizeJ]            // coord1 < size1
s_and_b64 s[58:59], s[54:55], s[58:59]             // in0 && in1
_v_add_lshl_u32 v58, v2, v0, 0x0                   // scaleToBpe: accumulate d0 lower and *= bpe into Cin addr
v_cndmask_b32 v58, -1, v58, s[58:59]               // LDC clip if OOB. offset
_buffer_load_b64 v[60:61], v58, s[sgprSrdC:sgprSrdC+3], 0, offen offset:0,  sc0 sc1 // load C for beta calc
_v_add_lshl_u32 v58, v3, v0, 0x0                   // scaleToBpe: accumulate d0 lower and *= bpe into Cin addr
v_cndmask_b32 v58, -1, v58, s[58:59]               // LDD clip if OOB. offset
/* (d1,vc1,d0,vc0)=(6,2,0,0) */
_v_add_co_u32 v1, vcc, v1, 1                       // coord1.1: coord1Vgpr += d1*sg1*VW + vc1

/* Fix for UseInitialStridesCD, emitAddressSetupCode */
_v_add_u32 v2, v2, s[sgprStrideC1J]                // ROWINC- Move cinRowPtr to next row
_v_add_u32 v3, v3, s[sgprStrideD1J]                // Move coutRowPtr to next row
	;; [unrolled: 14-line block ×3, first 2 shown]
v_cmp_lt_u32 s[54:55], v0, s[sgprSizeI]            // coord0 < size0
v_cmp_lt_u32 s[58:59], v1, s[sgprSizeJ]            // coord1 < size1
s_and_b64 s[58:59], s[54:55], s[58:59]             // in0 && in1
_v_add_lshl_u32 v88, v2, v0, 0x0                   // scaleToBpe: accumulate d0 lower and *= bpe into Cin addr
v_cndmask_b32 v88, -1, v88, s[58:59]               // LDC clip if OOB. offset
_buffer_load_b64 v[90:91], v88, s[sgprSrdC:sgprSrdC+3], 0, offen offset:0,  sc0 sc1 // load C for beta calc
_v_add_lshl_u32 v88, v3, v0, 0x0                   // scaleToBpe: accumulate d0 lower and *= bpe into Cin addr
v_cndmask_b32 v88, -1, v88, s[58:59]               // LDD clip if OOB. offset
v_accvgpr_read_b32 v[vgprValuC+16], acc160 // copy acc to vreg[160]
v_accvgpr_read_b32 v[vgprValuC+17], acc164 // copy acc to vreg[161]
v_accvgpr_read_b32 v[vgprValuC+18], acc168 // copy acc to vreg[162]
v_accvgpr_read_b32 v[vgprValuC+19], acc172 // copy acc to vreg[163]
v_accvgpr_read_b32 v[vgprValuC+20], acc176 // copy acc to vreg[164]
v_accvgpr_read_b32 v[vgprValuC+21], acc180 // copy acc to vreg[165]
v_accvgpr_read_b32 v[vgprValuC+22], acc184 // copy acc to vreg[166]
v_accvgpr_read_b32 v[vgprValuC+23], acc188 // copy acc to vreg[167]
v_accvgpr_read_b32 v[vgprValuC+32], acc161 // copy acc to vreg[168]
v_accvgpr_read_b32 v[vgprValuC+33], acc165 // copy acc to vreg[169]
v_accvgpr_read_b32 v[vgprValuC+34], acc169 // copy acc to vreg[170]
v_accvgpr_read_b32 v[vgprValuC+35], acc173 // copy acc to vreg[171]
v_accvgpr_read_b32 v[vgprValuC+36], acc177 // copy acc to vreg[172]
v_accvgpr_read_b32 v[vgprValuC+37], acc181 // copy acc to vreg[173]
v_accvgpr_read_b32 v[vgprValuC+38], acc185 // copy acc to vreg[174]
v_accvgpr_read_b32 v[vgprValuC+39], acc189 // copy acc to vreg[175]
v_accvgpr_read_b32 v[vgprValuC+40], acc162 // copy acc to vreg[176]
v_accvgpr_read_b32 v[vgprValuC+41], acc166 // copy acc to vreg[177]
v_accvgpr_read_b32 v[vgprValuC+42], acc170 // copy acc to vreg[178]
v_accvgpr_read_b32 v[vgprValuC+43], acc174 // copy acc to vreg[179]
v_accvgpr_read_b32 v[vgprValuC+44], acc178 // copy acc to vreg[180]
v_accvgpr_read_b32 v[vgprValuC+45], acc182 // copy acc to vreg[181]
v_accvgpr_read_b32 v[vgprValuC+46], acc186 // copy acc to vreg[182]
v_accvgpr_read_b32 v[vgprValuC+47], acc190 // copy acc to vreg[183]
v_accvgpr_read_b32 v[vgprValuC+48], acc163 // copy acc to vreg[184]
v_accvgpr_read_b32 v[vgprValuC+49], acc167 // copy acc to vreg[185]
v_accvgpr_read_b32 v[vgprValuC+50], acc171 // copy acc to vreg[186]
v_accvgpr_read_b32 v[vgprValuC+51], acc175 // copy acc to vreg[187]
v_accvgpr_read_b32 v[vgprValuC+52], acc179 // copy acc to vreg[188]
v_accvgpr_read_b32 v[vgprValuC+53], acc183 // copy acc to vreg[189]
v_accvgpr_read_b32 v[vgprValuC+54], acc187 // copy acc to vreg[190]
v_accvgpr_read_b32 v[vgprValuC+55], acc191 // copy acc to vreg[191]
v_accvgpr_read_b32 v[vgprValuC+64], acc192 // copy acc to vreg[192]
v_accvgpr_read_b32 v[vgprValuC+65], acc196 // copy acc to vreg[193]
v_accvgpr_read_b32 v[vgprValuC+66], acc200 // copy acc to vreg[194]
v_accvgpr_read_b32 v[vgprValuC+67], acc204 // copy acc to vreg[195]
v_accvgpr_read_b32 v[vgprValuC+68], acc208 // copy acc to vreg[196]
v_accvgpr_read_b32 v[vgprValuC+69], acc212 // copy acc to vreg[197]
v_accvgpr_read_b32 v[vgprValuC+70], acc216 // copy acc to vreg[198]
v_accvgpr_read_b32 v[vgprValuC+71], acc220 // copy acc to vreg[199]
v_accvgpr_read_b32 v[vgprValuC+72], acc193 // copy acc to vreg[200]
v_accvgpr_read_b32 v[vgprValuC+73], acc197 // copy acc to vreg[201]
v_accvgpr_read_b32 v[vgprValuC+74], acc201 // copy acc to vreg[202]
v_accvgpr_read_b32 v[vgprValuC+75], acc205 // copy acc to vreg[203]
v_accvgpr_read_b32 v[vgprValuC+76], acc209 // copy acc to vreg[204]
v_accvgpr_read_b32 v[vgprValuC+77], acc213 // copy acc to vreg[205]
v_accvgpr_read_b32 v[vgprValuC+78], acc217 // copy acc to vreg[206]
v_accvgpr_read_b32 v[vgprValuC+79], acc221 // copy acc to vreg[207]
v_accvgpr_read_b32 v[vgprValuC+80], acc194 // copy acc to vreg[208]
v_accvgpr_read_b32 v[vgprValuC+81], acc198 // copy acc to vreg[209]
v_accvgpr_read_b32 v[vgprValuC+82], acc202 // copy acc to vreg[210]
v_accvgpr_read_b32 v[vgprValuC+83], acc206 // copy acc to vreg[211]
v_accvgpr_read_b32 v[vgprValuC+84], acc210 // copy acc to vreg[212]
v_accvgpr_read_b32 v[vgprValuC+85], acc214 // copy acc to vreg[213]
v_accvgpr_read_b32 v[vgprValuC+86], acc218 // copy acc to vreg[214]
v_accvgpr_read_b32 v[vgprValuC+87], acc222 // copy acc to vreg[215]
v_accvgpr_read_b32 v[vgprValuC+96], acc195 // copy acc to vreg[216]
v_accvgpr_read_b32 v[vgprValuC+97], acc199 // copy acc to vreg[217]
v_accvgpr_read_b32 v[vgprValuC+98], acc203 // copy acc to vreg[218]
v_accvgpr_read_b32 v[vgprValuC+99], acc207 // copy acc to vreg[219]
v_accvgpr_read_b32 v[vgprValuC+100], acc211 // copy acc to vreg[220]
v_accvgpr_read_b32 v[vgprValuC+101], acc215 // copy acc to vreg[221]
v_accvgpr_read_b32 v[vgprValuC+102], acc219 // copy acc to vreg[222]
v_accvgpr_read_b32 v[vgprValuC+103], acc223 // copy acc to vreg[223]
s_nop 1                                            // 2 wait states required before reading vgpr

/* rC *= alpha batchElements=[(5, 0, 0, 0), (5, 0, 1, 0), (5, 0, 2, 0), (5, 0, 3, 0), (6, 0, 0, 0), (6, 0, 1, 0), (6, 0, 2, 0), (6, 0, 3, 0)] */
v_mul_f32 v[vgprValuC+16], s[sgprAlpha], v[vgprValuC+16] // *= alpha
v_mul_f32 v[vgprValuC+17], s[sgprAlpha], v[vgprValuC+17] // *= alpha
	;; [unrolled: 1-line block ×64, first 2 shown]
s_waitcnt vmcnt(0)                                 // wait C

/* apply mask, calc new C and issue writes */
v_mov_b32 v10, 0x207                               // flag for Nan and +/- inf
v_mov_b32 v8, 0x47600000                           // save 57344.0f as max for clipping
v_mov_b32 v9, 0xC7600000                           // save -57344`.0f as min for clipping
V_cvt_pk_f32_bf8 v[6:7], v12    // convert two f8 in lo_16 to f32
_v_mac_f32 v[vgprValuC+16], v6, s[sgprBeta]        // finalSum = sum*alpha + C*beta
_v_mac_f32 v[vgprValuC+17], v7, s[sgprBeta]        // finalSum = sum*alpha + C*beta
V_cvt_pk_f32_bf8 v[6:7], v12  src0_sel:WORD_1  // convert two f8 in hi_16 to f32
_v_mac_f32 v[vgprValuC+18], v6, s[sgprBeta]        // finalSum = sum*alpha + C*beta
_v_mac_f32 v[vgprValuC+19], v7, s[sgprBeta]        // finalSum = sum*alpha + C*beta
V_cvt_pk_f32_bf8 v[6:7], v13    // convert two f8 in lo_16 to f32
_v_mac_f32 v[vgprValuC+20], v6, s[sgprBeta]        // finalSum = sum*alpha + C*beta
_v_mac_f32 v[vgprValuC+21], v7, s[sgprBeta]        // finalSum = sum*alpha + C*beta
V_cvt_pk_f32_bf8 v[6:7], v13  src0_sel:WORD_1  // convert two f8 in hi_16 to f32
_v_mac_f32 v[vgprValuC+22], v6, s[sgprBeta]        // finalSum = sum*alpha + C*beta
_v_mac_f32 v[vgprValuC+23], v7, s[sgprBeta]        // finalSum = sum*alpha + C*beta
v_cmp_class_f32 s[54:55], v[vgprValuC+16], v10     // check NaN and +/-INF
v_med3_f32 v6, v[vgprValuC+16], v8, v9             // Clipping f32 value if exceeds the limit
v_cndmask_b32 v6, v6, v[vgprValuC+16], s[54:55]    // 
v_cmp_class_f32 s[54:55], v[vgprValuC+17], v10     // check NaN and +/-INF
v_med3_f32 v7, v[vgprValuC+17], v8, v9             // Clipping f32 value if exceeds the limit
v_cndmask_b32 v7, v7, v[vgprValuC+17], s[54:55]    // 
v_cvt_pk_bf8_f32  v16, v6, v7 op_sel:[0,0,0]       // convert two f32 accumulated values to fp8 and save it to lo_16[0:15]
v_cmp_class_f32 s[54:55], v[vgprValuC+18], v10     // check NaN and +/-INF
v_med3_f32 v6, v[vgprValuC+18], v8, v9             // Clipping f32 value if exceeds the limit
v_cndmask_b32 v6, v6, v[vgprValuC+18], s[54:55]    // 
v_cmp_class_f32 s[54:55], v[vgprValuC+19], v10     // check NaN and +/-INF
v_med3_f32 v7, v[vgprValuC+19], v8, v9             // Clipping f32 value if exceeds the limit
v_cndmask_b32 v7, v7, v[vgprValuC+19], s[54:55]    // 
v_cvt_pk_bf8_f32  v16, v6, v7 op_sel:[0,0,1]       // convert two f32 accumulated values to fp8 and save it to hi_16[16:31]
v_cmp_class_f32 s[54:55], v[vgprValuC+20], v10     // check NaN and +/-INF
v_med3_f32 v6, v[vgprValuC+20], v8, v9             // Clipping f32 value if exceeds the limit
v_cndmask_b32 v6, v6, v[vgprValuC+20], s[54:55]    // 
v_cmp_class_f32 s[54:55], v[vgprValuC+21], v10     // check NaN and +/-INF
v_med3_f32 v7, v[vgprValuC+21], v8, v9             // Clipping f32 value if exceeds the limit
v_cndmask_b32 v7, v7, v[vgprValuC+21], s[54:55]    // 
v_cvt_pk_bf8_f32  v17, v6, v7 op_sel:[0,0,0]       // convert two f32 accumulated values to fp8 and save it to lo_16[0:15]
v_cmp_class_f32 s[54:55], v[vgprValuC+22], v10     // check NaN and +/-INF
v_med3_f32 v6, v[vgprValuC+22], v8, v9             // Clipping f32 value if exceeds the limit
v_cndmask_b32 v6, v6, v[vgprValuC+22], s[54:55]    // 
v_cmp_class_f32 s[54:55], v[vgprValuC+23], v10     // check NaN and +/-INF
v_med3_f32 v7, v[vgprValuC+23], v8, v9             // Clipping f32 value if exceeds the limit
v_cndmask_b32 v7, v7, v[vgprValuC+23], s[54:55]    // 
v_cvt_pk_bf8_f32  v17, v6, v7 op_sel:[0,0,1]       // convert two f32 accumulated values to fp8 and save it to hi_16[16:31]
_buffer_store_b64 v[16:17], v11, s[sgprSrdD:sgprSrdD+3], 0, offen, offset:0,  sc0 sc1 // store D
V_cvt_pk_f32_bf8 v[6:7], v24    // convert two f8 in lo_16 to f32
_v_mac_f32 v[vgprValuC+32], v6, s[sgprBeta]        // finalSum = sum*alpha + C*beta
_v_mac_f32 v[vgprValuC+33], v7, s[sgprBeta]        // finalSum = sum*alpha + C*beta
V_cvt_pk_f32_bf8 v[6:7], v24  src0_sel:WORD_1  // convert two f8 in hi_16 to f32
_v_mac_f32 v[vgprValuC+34], v6, s[sgprBeta]        // finalSum = sum*alpha + C*beta
_v_mac_f32 v[vgprValuC+35], v7, s[sgprBeta]        // finalSum = sum*alpha + C*beta
V_cvt_pk_f32_bf8 v[6:7], v25    // convert two f8 in lo_16 to f32
_v_mac_f32 v[vgprValuC+36], v6, s[sgprBeta]        // finalSum = sum*alpha + C*beta
_v_mac_f32 v[vgprValuC+37], v7, s[sgprBeta]        // finalSum = sum*alpha + C*beta
V_cvt_pk_f32_bf8 v[6:7], v25  src0_sel:WORD_1  // convert two f8 in hi_16 to f32
_v_mac_f32 v[vgprValuC+38], v6, s[sgprBeta]        // finalSum = sum*alpha + C*beta
_v_mac_f32 v[vgprValuC+39], v7, s[sgprBeta]        // finalSum = sum*alpha + C*beta
v_cmp_class_f32 s[54:55], v[vgprValuC+32], v10     // check NaN and +/-INF
v_med3_f32 v6, v[vgprValuC+32], v8, v9             // Clipping f32 value if exceeds the limit
v_cndmask_b32 v6, v6, v[vgprValuC+32], s[54:55]    // 
v_cmp_class_f32 s[54:55], v[vgprValuC+33], v10     // check NaN and +/-INF
v_med3_f32 v7, v[vgprValuC+33], v8, v9             // Clipping f32 value if exceeds the limit
v_cndmask_b32 v7, v7, v[vgprValuC+33], s[54:55]    // 
v_cvt_pk_bf8_f32  v32, v6, v7 op_sel:[0,0,0]       // convert two f32 accumulated values to fp8 and save it to lo_16[0:15]
v_cmp_class_f32 s[54:55], v[vgprValuC+34], v10     // check NaN and +/-INF
v_med3_f32 v6, v[vgprValuC+34], v8, v9             // Clipping f32 value if exceeds the limit
v_cndmask_b32 v6, v6, v[vgprValuC+34], s[54:55]    // 
v_cmp_class_f32 s[54:55], v[vgprValuC+35], v10     // check NaN and +/-INF
v_med3_f32 v7, v[vgprValuC+35], v8, v9             // Clipping f32 value if exceeds the limit
v_cndmask_b32 v7, v7, v[vgprValuC+35], s[54:55]    // 
v_cvt_pk_bf8_f32  v32, v6, v7 op_sel:[0,0,1]       // convert two f32 accumulated values to fp8 and save it to hi_16[16:31]
v_cmp_class_f32 s[54:55], v[vgprValuC+36], v10     // check NaN and +/-INF
v_med3_f32 v6, v[vgprValuC+36], v8, v9             // Clipping f32 value if exceeds the limit
v_cndmask_b32 v6, v6, v[vgprValuC+36], s[54:55]    // 
v_cmp_class_f32 s[54:55], v[vgprValuC+37], v10     // check NaN and +/-INF
v_med3_f32 v7, v[vgprValuC+37], v8, v9             // Clipping f32 value if exceeds the limit
v_cndmask_b32 v7, v7, v[vgprValuC+37], s[54:55]    // 
v_cvt_pk_bf8_f32  v33, v6, v7 op_sel:[0,0,0]       // convert two f32 accumulated values to fp8 and save it to lo_16[0:15]
v_cmp_class_f32 s[54:55], v[vgprValuC+38], v10     // check NaN and +/-INF
v_med3_f32 v6, v[vgprValuC+38], v8, v9             // Clipping f32 value if exceeds the limit
v_cndmask_b32 v6, v6, v[vgprValuC+38], s[54:55]    // 
v_cmp_class_f32 s[54:55], v[vgprValuC+39], v10     // check NaN and +/-INF
v_med3_f32 v7, v[vgprValuC+39], v8, v9             // Clipping f32 value if exceeds the limit
v_cndmask_b32 v7, v7, v[vgprValuC+39], s[54:55]    // 
v_cvt_pk_bf8_f32  v33, v6, v7 op_sel:[0,0,1]       // convert two f32 accumulated values to fp8 and save it to hi_16[16:31]
_buffer_store_b64 v[32:33], v14, s[sgprSrdD:sgprSrdD+3], 0, offen, offset:0,  sc0 sc1 // store D
	;; [unrolled: 41-line block ×7, first 2 shown]
V_cvt_pk_f32_bf8 v[6:7], v90    // convert two f8 in lo_16 to f32
_v_mac_f32 v[vgprValuC+96], v6, s[sgprBeta]        // finalSum = sum*alpha + C*beta
_v_mac_f32 v[vgprValuC+97], v7, s[sgprBeta]        // finalSum = sum*alpha + C*beta
V_cvt_pk_f32_bf8 v[6:7], v90  src0_sel:WORD_1  // convert two f8 in hi_16 to f32
_v_mac_f32 v[vgprValuC+98], v6, s[sgprBeta]        // finalSum = sum*alpha + C*beta
_v_mac_f32 v[vgprValuC+99], v7, s[sgprBeta]        // finalSum = sum*alpha + C*beta
V_cvt_pk_f32_bf8 v[6:7], v91    // convert two f8 in lo_16 to f32
_v_mac_f32 v[vgprValuC+100], v6, s[sgprBeta]       // finalSum = sum*alpha + C*beta
_v_mac_f32 v[vgprValuC+101], v7, s[sgprBeta]       // finalSum = sum*alpha + C*beta
V_cvt_pk_f32_bf8 v[6:7], v91  src0_sel:WORD_1  // convert two f8 in hi_16 to f32
_v_mac_f32 v[vgprValuC+102], v6, s[sgprBeta]       // finalSum = sum*alpha + C*beta
_v_mac_f32 v[vgprValuC+103], v7, s[sgprBeta]       // finalSum = sum*alpha + C*beta
v_cmp_class_f32 s[54:55], v[vgprValuC+96], v10     // check NaN and +/-INF
v_med3_f32 v6, v[vgprValuC+96], v8, v9             // Clipping f32 value if exceeds the limit
v_cndmask_b32 v6, v6, v[vgprValuC+96], s[54:55]    // 
v_cmp_class_f32 s[54:55], v[vgprValuC+97], v10     // check NaN and +/-INF
v_med3_f32 v7, v[vgprValuC+97], v8, v9             // Clipping f32 value if exceeds the limit
v_cndmask_b32 v7, v7, v[vgprValuC+97], s[54:55]    // 
v_cvt_pk_bf8_f32  v96, v6, v7 op_sel:[0,0,0]       // convert two f32 accumulated values to fp8 and save it to lo_16[0:15]
v_cmp_class_f32 s[54:55], v[vgprValuC+98], v10     // check NaN and +/-INF
v_med3_f32 v6, v[vgprValuC+98], v8, v9             // Clipping f32 value if exceeds the limit
v_cndmask_b32 v6, v6, v[vgprValuC+98], s[54:55]    // 
v_cmp_class_f32 s[54:55], v[vgprValuC+99], v10     // check NaN and +/-INF
v_med3_f32 v7, v[vgprValuC+99], v8, v9             // Clipping f32 value if exceeds the limit
v_cndmask_b32 v7, v7, v[vgprValuC+99], s[54:55]    // 
v_cvt_pk_bf8_f32  v96, v6, v7 op_sel:[0,0,1]       // convert two f32 accumulated values to fp8 and save it to hi_16[16:31]
v_cmp_class_f32 s[54:55], v[vgprValuC+100], v10    // check NaN and +/-INF
v_med3_f32 v6, v[vgprValuC+100], v8, v9            // Clipping f32 value if exceeds the limit
v_cndmask_b32 v6, v6, v[vgprValuC+100], s[54:55]   // 
v_cmp_class_f32 s[54:55], v[vgprValuC+101], v10    // check NaN and +/-INF
v_med3_f32 v7, v[vgprValuC+101], v8, v9            // Clipping f32 value if exceeds the limit
v_cndmask_b32 v7, v7, v[vgprValuC+101], s[54:55]   // 
v_cvt_pk_bf8_f32  v97, v6, v7 op_sel:[0,0,0]       // convert two f32 accumulated values to fp8 and save it to lo_16[0:15]
v_cmp_class_f32 s[54:55], v[vgprValuC+102], v10    // check NaN and +/-INF
v_med3_f32 v6, v[vgprValuC+102], v8, v9            // Clipping f32 value if exceeds the limit
v_cndmask_b32 v6, v6, v[vgprValuC+102], s[54:55]   // 
v_cmp_class_f32 s[54:55], v[vgprValuC+103], v10    // check NaN and +/-INF
v_med3_f32 v7, v[vgprValuC+103], v8, v9            // Clipping f32 value if exceeds the limit
v_cndmask_b32 v7, v7, v[vgprValuC+103], s[54:55]   // 
v_cvt_pk_bf8_f32  v97, v6, v7 op_sel:[0,0,1]       // convert two f32 accumulated values to fp8 and save it to hi_16[16:31]
_buffer_store_b64 v[96:97], v88, s[sgprSrdD:sgprSrdD+3], 0, offen, offset:0,  sc0 sc1 // store D
s_nop 0                                            // 1 wait state required when next inst writes vgprs held by previous dwordx4 store inst
s_branch label_GW_End_42                           // jump to end
label_GW_End_42:

label_0047:  /// KernelEnd
s_endpgm                                           // Kernel End

